;; amdgpu-corpus repo=ROCm/rocFFT kind=compiled arch=gfx1201 opt=O3
	.text
	.amdgcn_target "amdgcn-amd-amdhsa--gfx1201"
	.amdhsa_code_object_version 6
	.protected	fft_rtc_fwd_len100_factors_10_10_wgs_100_tpt_10_dp_op_CI_CI_sbcr_C2R_dirReg_intrinsicReadWrite ; -- Begin function fft_rtc_fwd_len100_factors_10_10_wgs_100_tpt_10_dp_op_CI_CI_sbcr_C2R_dirReg_intrinsicReadWrite
	.globl	fft_rtc_fwd_len100_factors_10_10_wgs_100_tpt_10_dp_op_CI_CI_sbcr_C2R_dirReg_intrinsicReadWrite
	.p2align	8
	.type	fft_rtc_fwd_len100_factors_10_10_wgs_100_tpt_10_dp_op_CI_CI_sbcr_C2R_dirReg_intrinsicReadWrite,@function
fft_rtc_fwd_len100_factors_10_10_wgs_100_tpt_10_dp_op_CI_CI_sbcr_C2R_dirReg_intrinsicReadWrite: ; @fft_rtc_fwd_len100_factors_10_10_wgs_100_tpt_10_dp_op_CI_CI_sbcr_C2R_dirReg_intrinsicReadWrite
; %bb.0:
	s_clause 0x1
	s_load_b128 s[16:19], s[0:1], 0x10
	s_load_b64 s[28:29], s[0:1], 0x20
	s_mov_b32 s3, 0
	s_mov_b32 s4, 0x99986000
	s_movk_i32 s5, 0x59
	s_mov_b32 s2, s3
	s_mov_b64 s[26:27], 0
	s_add_nc_u64 s[4:5], s[2:3], s[4:5]
	s_delay_alu instid0(SALU_CYCLE_1) | instskip(NEXT) | instid1(SALU_CYCLE_1)
	s_add_co_i32 s5, s5, 0x19999940
	s_mul_u64 s[6:7], s[4:5], -10
	s_delay_alu instid0(SALU_CYCLE_1)
	s_mul_hi_u32 s9, s4, s7
	s_mul_i32 s8, s4, s7
	s_mul_hi_u32 s2, s4, s6
	s_mul_i32 s11, s5, s6
	s_add_nc_u64 s[8:9], s[2:3], s[8:9]
	s_mul_hi_u32 s10, s5, s6
	s_mul_hi_u32 s12, s5, s7
	s_wait_kmcnt 0x0
	s_load_b64 s[20:21], s[16:17], 0x8
	s_add_co_u32 s2, s8, s11
	s_add_co_ci_u32 s2, s9, s10
	s_mul_i32 s6, s5, s7
	s_add_co_ci_u32 s7, s12, 0
	s_delay_alu instid0(SALU_CYCLE_1) | instskip(NEXT) | instid1(SALU_CYCLE_1)
	s_add_nc_u64 s[6:7], s[2:3], s[6:7]
	v_add_co_u32 v1, s2, s4, s6
	s_delay_alu instid0(VALU_DEP_1) | instskip(SKIP_1) | instid1(VALU_DEP_1)
	s_cmp_lg_u32 s2, 0
	s_add_co_ci_u32 s8, s5, s7
	v_readfirstlane_b32 s9, v1
	s_wait_kmcnt 0x0
	s_add_nc_u64 s[4:5], s[20:21], -1
	s_wait_alu 0xfffe
	s_mul_hi_u32 s7, s4, s8
	s_mul_i32 s6, s4, s8
	s_mul_hi_u32 s2, s4, s9
	s_mul_hi_u32 s11, s5, s9
	s_mul_i32 s9, s5, s9
	s_wait_alu 0xfffe
	s_add_nc_u64 s[6:7], s[2:3], s[6:7]
	s_mul_hi_u32 s10, s5, s8
	s_wait_alu 0xfffe
	s_add_co_u32 s2, s6, s9
	s_add_co_ci_u32 s2, s7, s11
	s_mul_i32 s8, s5, s8
	s_add_co_ci_u32 s9, s10, 0
	s_delay_alu instid0(SALU_CYCLE_1) | instskip(SKIP_2) | instid1(SALU_CYCLE_1)
	s_add_nc_u64 s[6:7], s[2:3], s[8:9]
	s_wait_alu 0xfffe
	s_mul_u64 s[8:9], s[6:7], 10
	v_sub_co_u32 v1, s2, s4, s8
	s_delay_alu instid0(VALU_DEP_1) | instskip(SKIP_1) | instid1(VALU_DEP_1)
	s_cmp_lg_u32 s2, 0
	s_sub_co_ci_u32 s10, s5, s9
	v_sub_co_u32 v2, s4, v1, 10
	s_delay_alu instid0(VALU_DEP_1) | instskip(SKIP_2) | instid1(VALU_DEP_2)
	s_cmp_lg_u32 s4, 0
	v_readfirstlane_b32 s11, v1
	s_sub_co_ci_u32 s8, s10, 0
	v_readfirstlane_b32 s2, v2
	s_add_nc_u64 s[4:5], s[6:7], 1
	s_delay_alu instid0(VALU_DEP_1)
	s_cmp_gt_u32 s2, 9
	s_cselect_b32 s2, -1, 0
	s_wait_alu 0xfffe
	s_cmp_eq_u32 s8, 0
	s_add_nc_u64 s[8:9], s[6:7], 2
	s_cselect_b32 s2, s2, -1
	s_delay_alu instid0(SALU_CYCLE_1)
	s_cmp_lg_u32 s2, 0
	s_wait_alu 0xfffe
	s_cselect_b32 s2, s8, s4
	s_cselect_b32 s4, s9, s5
	s_cmp_gt_u32 s11, 9
	s_cselect_b32 s5, -1, 0
	s_cmp_eq_u32 s10, 0
	s_wait_alu 0xfffe
	s_cselect_b32 s5, s5, -1
	s_wait_alu 0xfffe
	s_cmp_lg_u32 s5, 0
	s_cselect_b32 s5, s4, s7
	s_cselect_b32 s4, s2, s6
	s_mov_b32 s2, ttmp9
	s_wait_alu 0xfffe
	s_add_nc_u64 s[30:31], s[4:5], 1
	s_delay_alu instid0(SALU_CYCLE_1) | instskip(NEXT) | instid1(VALU_DEP_1)
	v_cmp_lt_u64_e64 s4, s[2:3], s[30:31]
	s_and_b32 vcc_lo, exec_lo, s4
	s_cbranch_vccnz .LBB0_2
; %bb.1:
	v_cvt_f32_u32_e32 v1, s30
	s_sub_co_i32 s5, 0, s30
	s_mov_b32 s27, s3
	s_delay_alu instid0(VALU_DEP_1) | instskip(NEXT) | instid1(TRANS32_DEP_1)
	v_rcp_iflag_f32_e32 v1, v1
	v_mul_f32_e32 v1, 0x4f7ffffe, v1
	s_delay_alu instid0(VALU_DEP_1) | instskip(NEXT) | instid1(VALU_DEP_1)
	v_cvt_u32_f32_e32 v1, v1
	v_readfirstlane_b32 s4, v1
	s_wait_alu 0xfffe
	s_delay_alu instid0(VALU_DEP_1)
	s_mul_i32 s5, s5, s4
	s_wait_alu 0xfffe
	s_mul_hi_u32 s5, s4, s5
	s_wait_alu 0xfffe
	s_add_co_i32 s4, s4, s5
	s_wait_alu 0xfffe
	s_mul_hi_u32 s4, s2, s4
	s_wait_alu 0xfffe
	s_mul_i32 s5, s4, s30
	s_add_co_i32 s6, s4, 1
	s_wait_alu 0xfffe
	s_sub_co_i32 s5, s2, s5
	s_wait_alu 0xfffe
	s_sub_co_i32 s7, s5, s30
	s_cmp_ge_u32 s5, s30
	s_cselect_b32 s4, s6, s4
	s_wait_alu 0xfffe
	s_cselect_b32 s5, s7, s5
	s_add_co_i32 s6, s4, 1
	s_wait_alu 0xfffe
	s_cmp_ge_u32 s5, s30
	s_cselect_b32 s26, s6, s4
.LBB0_2:
	s_load_b128 s[8:11], s[0:1], 0x0
	s_load_b128 s[12:15], s[18:19], 0x0
	;; [unrolled: 1-line block ×3, first 2 shown]
	s_mul_u64 s[22:23], s[26:27], s[30:31]
	s_delay_alu instid0(SALU_CYCLE_1) | instskip(NEXT) | instid1(SALU_CYCLE_1)
	s_sub_nc_u64 s[22:23], s[2:3], s[22:23]
	s_mul_u64 s[22:23], s[22:23], 10
	s_wait_kmcnt 0x0
	v_cmp_lt_u64_e64 s24, s[10:11], 3
	s_mul_u64 s[34:35], s[14:15], s[22:23]
	s_delay_alu instid0(VALU_DEP_1)
	s_and_b32 vcc_lo, exec_lo, s24
	s_mul_u64 s[24:25], s[6:7], s[22:23]
	s_cbranch_vccnz .LBB0_12
; %bb.3:
	s_add_nc_u64 s[36:37], s[28:29], 16
	s_add_nc_u64 s[38:39], s[18:19], 16
	;; [unrolled: 1-line block ×3, first 2 shown]
	s_mov_b64 s[40:41], 2
	s_mov_b32 s42, 0
.LBB0_4:                                ; =>This Inner Loop Header: Depth=1
	s_load_b64 s[44:45], s[16:17], 0x0
                                        ; implicit-def: $sgpr48_sgpr49
	s_wait_kmcnt 0x0
	s_or_b64 s[46:47], s[26:27], s[44:45]
	s_delay_alu instid0(SALU_CYCLE_1)
	s_mov_b32 s43, s47
	s_mov_b32 s47, -1
	s_cmp_lg_u64 s[42:43], 0
	s_cbranch_scc0 .LBB0_6
; %bb.5:                                ;   in Loop: Header=BB0_4 Depth=1
	s_cvt_f32_u32 s33, s44
	s_cvt_f32_u32 s43, s45
	s_sub_nc_u64 s[50:51], 0, s[44:45]
	s_mov_b32 s47, 0
	s_mov_b32 s55, s42
	s_wait_alu 0xfffe
	s_fmamk_f32 s33, s43, 0x4f800000, s33
	s_wait_alu 0xfffe
	s_delay_alu instid0(SALU_CYCLE_2) | instskip(NEXT) | instid1(TRANS32_DEP_1)
	v_s_rcp_f32 s33, s33
	s_mul_f32 s33, s33, 0x5f7ffffc
	s_wait_alu 0xfffe
	s_delay_alu instid0(SALU_CYCLE_2) | instskip(NEXT) | instid1(SALU_CYCLE_3)
	s_mul_f32 s43, s33, 0x2f800000
	s_trunc_f32 s43, s43
	s_delay_alu instid0(SALU_CYCLE_3) | instskip(SKIP_2) | instid1(SALU_CYCLE_1)
	s_fmamk_f32 s33, s43, 0xcf800000, s33
	s_cvt_u32_f32 s49, s43
	s_wait_alu 0xfffe
	s_cvt_u32_f32 s48, s33
	s_wait_alu 0xfffe
	s_delay_alu instid0(SALU_CYCLE_2)
	s_mul_u64 s[52:53], s[50:51], s[48:49]
	s_wait_alu 0xfffe
	s_mul_hi_u32 s57, s48, s53
	s_mul_i32 s56, s48, s53
	s_mul_hi_u32 s46, s48, s52
	s_mul_i32 s43, s49, s52
	s_add_nc_u64 s[56:57], s[46:47], s[56:57]
	s_mul_hi_u32 s33, s49, s52
	s_mul_hi_u32 s58, s49, s53
	s_add_co_u32 s43, s56, s43
	s_wait_alu 0xfffe
	s_add_co_ci_u32 s54, s57, s33
	s_mul_i32 s52, s49, s53
	s_add_co_ci_u32 s53, s58, 0
	s_wait_alu 0xfffe
	s_add_nc_u64 s[52:53], s[54:55], s[52:53]
	s_wait_alu 0xfffe
	v_add_co_u32 v1, s33, s48, s52
	s_delay_alu instid0(VALU_DEP_1) | instskip(SKIP_1) | instid1(VALU_DEP_1)
	s_cmp_lg_u32 s33, 0
	s_add_co_ci_u32 s49, s49, s53
	v_readfirstlane_b32 s48, v1
	s_mov_b32 s53, s42
	s_wait_alu 0xfffe
	s_delay_alu instid0(VALU_DEP_1)
	s_mul_u64 s[50:51], s[50:51], s[48:49]
	s_wait_alu 0xfffe
	s_mul_hi_u32 s55, s48, s51
	s_mul_i32 s54, s48, s51
	s_mul_hi_u32 s46, s48, s50
	s_mul_i32 s43, s49, s50
	s_add_nc_u64 s[54:55], s[46:47], s[54:55]
	s_mul_hi_u32 s33, s49, s50
	s_mul_hi_u32 s48, s49, s51
	s_add_co_u32 s43, s54, s43
	s_wait_alu 0xfffe
	s_add_co_ci_u32 s52, s55, s33
	s_mul_i32 s50, s49, s51
	s_add_co_ci_u32 s51, s48, 0
	s_wait_alu 0xfffe
	s_add_nc_u64 s[50:51], s[52:53], s[50:51]
	s_wait_alu 0xfffe
	v_add_co_u32 v1, s33, v1, s50
	s_delay_alu instid0(VALU_DEP_1) | instskip(SKIP_1) | instid1(VALU_DEP_1)
	s_cmp_lg_u32 s33, 0
	s_add_co_ci_u32 s33, s49, s51
	v_readfirstlane_b32 s43, v1
	s_wait_alu 0xfffe
	s_mul_hi_u32 s49, s26, s33
	s_mul_i32 s48, s26, s33
	s_mul_hi_u32 s51, s27, s33
	s_mul_i32 s50, s27, s33
	;; [unrolled: 2-line block ×3, first 2 shown]
	s_wait_alu 0xfffe
	s_add_nc_u64 s[48:49], s[46:47], s[48:49]
	s_mul_hi_u32 s43, s27, s43
	s_wait_alu 0xfffe
	s_add_co_u32 s33, s48, s33
	s_add_co_ci_u32 s52, s49, s43
	s_add_co_ci_u32 s51, s51, 0
	s_wait_alu 0xfffe
	s_add_nc_u64 s[48:49], s[52:53], s[50:51]
	s_wait_alu 0xfffe
	s_mul_u64 s[50:51], s[44:45], s[48:49]
	s_add_nc_u64 s[52:53], s[48:49], 1
	s_wait_alu 0xfffe
	v_sub_co_u32 v1, s33, s26, s50
	s_sub_co_i32 s43, s27, s51
	s_cmp_lg_u32 s33, 0
	s_add_nc_u64 s[54:55], s[48:49], 2
	s_delay_alu instid0(VALU_DEP_1) | instskip(SKIP_2) | instid1(VALU_DEP_1)
	v_sub_co_u32 v2, s46, v1, s44
	s_sub_co_ci_u32 s43, s43, s45
	s_cmp_lg_u32 s46, 0
	v_readfirstlane_b32 s46, v2
	s_sub_co_ci_u32 s43, s43, 0
	s_delay_alu instid0(SALU_CYCLE_1) | instskip(SKIP_1) | instid1(VALU_DEP_1)
	s_cmp_ge_u32 s43, s45
	s_cselect_b32 s50, -1, 0
	s_cmp_ge_u32 s46, s44
	s_cselect_b32 s46, -1, 0
	s_cmp_eq_u32 s43, s45
	s_wait_alu 0xfffe
	s_cselect_b32 s43, s46, s50
	s_delay_alu instid0(SALU_CYCLE_1)
	s_cmp_lg_u32 s43, 0
	s_cselect_b32 s43, s54, s52
	s_cselect_b32 s46, s55, s53
	s_cmp_lg_u32 s33, 0
	v_readfirstlane_b32 s33, v1
	s_sub_co_ci_u32 s50, s27, s51
	s_wait_alu 0xfffe
	s_cmp_ge_u32 s50, s45
	s_cselect_b32 s51, -1, 0
	s_cmp_ge_u32 s33, s44
	s_cselect_b32 s33, -1, 0
	s_cmp_eq_u32 s50, s45
	s_wait_alu 0xfffe
	s_cselect_b32 s33, s33, s51
	s_wait_alu 0xfffe
	s_cmp_lg_u32 s33, 0
	s_cselect_b32 s49, s46, s49
	s_cselect_b32 s48, s43, s48
.LBB0_6:                                ;   in Loop: Header=BB0_4 Depth=1
	s_and_not1_b32 vcc_lo, exec_lo, s47
	s_cbranch_vccnz .LBB0_8
; %bb.7:                                ;   in Loop: Header=BB0_4 Depth=1
	v_cvt_f32_u32_e32 v1, s44
	s_sub_co_i32 s43, 0, s44
	s_mov_b32 s49, s42
	s_delay_alu instid0(VALU_DEP_1) | instskip(NEXT) | instid1(TRANS32_DEP_1)
	v_rcp_iflag_f32_e32 v1, v1
	v_mul_f32_e32 v1, 0x4f7ffffe, v1
	s_delay_alu instid0(VALU_DEP_1) | instskip(NEXT) | instid1(VALU_DEP_1)
	v_cvt_u32_f32_e32 v1, v1
	v_readfirstlane_b32 s33, v1
	s_delay_alu instid0(VALU_DEP_1) | instskip(NEXT) | instid1(SALU_CYCLE_1)
	s_mul_i32 s43, s43, s33
	s_mul_hi_u32 s43, s33, s43
	s_delay_alu instid0(SALU_CYCLE_1)
	s_add_co_i32 s33, s33, s43
	s_wait_alu 0xfffe
	s_mul_hi_u32 s33, s26, s33
	s_wait_alu 0xfffe
	s_mul_i32 s43, s33, s44
	s_add_co_i32 s46, s33, 1
	s_sub_co_i32 s43, s26, s43
	s_delay_alu instid0(SALU_CYCLE_1)
	s_sub_co_i32 s47, s43, s44
	s_cmp_ge_u32 s43, s44
	s_cselect_b32 s33, s46, s33
	s_cselect_b32 s43, s47, s43
	s_wait_alu 0xfffe
	s_add_co_i32 s46, s33, 1
	s_cmp_ge_u32 s43, s44
	s_cselect_b32 s48, s46, s33
.LBB0_8:                                ;   in Loop: Header=BB0_4 Depth=1
	s_load_b64 s[46:47], s[38:39], 0x0
	s_load_b64 s[50:51], s[36:37], 0x0
	s_add_nc_u64 s[40:41], s[40:41], 1
	s_mul_u64 s[30:31], s[44:45], s[30:31]
	s_wait_alu 0xfffe
	v_cmp_ge_u64_e64 s33, s[40:41], s[10:11]
	s_mul_u64 s[44:45], s[48:49], s[44:45]
	s_add_nc_u64 s[36:37], s[36:37], 8
	s_wait_alu 0xfffe
	s_sub_nc_u64 s[26:27], s[26:27], s[44:45]
	s_add_nc_u64 s[38:39], s[38:39], 8
	s_add_nc_u64 s[16:17], s[16:17], 8
	s_and_b32 vcc_lo, exec_lo, s33
	s_wait_kmcnt 0x0
	s_wait_alu 0xfffe
	s_mul_u64 s[44:45], s[46:47], s[26:27]
	s_mul_u64 s[26:27], s[50:51], s[26:27]
	s_wait_alu 0xfffe
	s_add_nc_u64 s[34:35], s[44:45], s[34:35]
	s_add_nc_u64 s[24:25], s[26:27], s[24:25]
	s_cbranch_vccnz .LBB0_10
; %bb.9:                                ;   in Loop: Header=BB0_4 Depth=1
	s_mov_b64 s[26:27], s[48:49]
	s_branch .LBB0_4
.LBB0_10:
	v_cmp_lt_u64_e64 s3, s[2:3], s[30:31]
	s_mov_b64 s[26:27], 0
	s_delay_alu instid0(VALU_DEP_1)
	s_and_b32 vcc_lo, exec_lo, s3
	s_cbranch_vccnz .LBB0_12
; %bb.11:
	v_cvt_f32_u32_e32 v1, s30
	s_sub_co_i32 s16, 0, s30
	s_mov_b32 s27, 0
	s_delay_alu instid0(VALU_DEP_1) | instskip(NEXT) | instid1(TRANS32_DEP_1)
	v_rcp_iflag_f32_e32 v1, v1
	v_mul_f32_e32 v1, 0x4f7ffffe, v1
	s_delay_alu instid0(VALU_DEP_1) | instskip(NEXT) | instid1(VALU_DEP_1)
	v_cvt_u32_f32_e32 v1, v1
	v_readfirstlane_b32 s3, v1
	s_delay_alu instid0(VALU_DEP_1) | instskip(NEXT) | instid1(SALU_CYCLE_1)
	s_mul_i32 s16, s16, s3
	s_mul_hi_u32 s16, s3, s16
	s_delay_alu instid0(SALU_CYCLE_1) | instskip(SKIP_4) | instid1(SALU_CYCLE_1)
	s_add_co_i32 s3, s3, s16
	s_wait_alu 0xfffe
	s_mul_hi_u32 s3, s2, s3
	s_wait_alu 0xfffe
	s_mul_i32 s16, s3, s30
	s_sub_co_i32 s2, s2, s16
	s_add_co_i32 s16, s3, 1
	s_wait_alu 0xfffe
	s_sub_co_i32 s17, s2, s30
	s_cmp_ge_u32 s2, s30
	s_cselect_b32 s3, s16, s3
	s_cselect_b32 s2, s17, s2
	s_wait_alu 0xfffe
	s_add_co_i32 s16, s3, 1
	s_cmp_ge_u32 s2, s30
	s_cselect_b32 s26, s16, s3
.LBB0_12:
	s_lshl_b64 s[10:11], s[10:11], 3
	v_mul_u32_u24_e32 v1, 0x199a, v0
	s_wait_alu 0xfffe
	s_add_nc_u64 s[16:17], s[18:19], s[10:11]
	s_add_nc_u64 s[10:11], s[28:29], s[10:11]
	s_load_b64 s[18:19], s[16:17], 0x0
	s_load_b128 s[0:3], s[0:1], 0x58
	v_lshrrev_b32_e32 v6, 16, v1
	s_load_b64 s[10:11], s[10:11], 0x0
	s_add_nc_u64 s[16:17], s[22:23], 10
	s_mov_b32 s28, 0
	v_cmp_le_u64_e64 s30, s[16:17], s[20:21]
	v_mul_lo_u16 v1, v6, 10
	s_delay_alu instid0(VALU_DEP_2) | instskip(NEXT) | instid1(VALU_DEP_1)
	s_and_b32 vcc_lo, exec_lo, s30
	v_sub_nc_u16 v1, v0, v1
	s_delay_alu instid0(VALU_DEP_1) | instskip(SKIP_2) | instid1(SALU_CYCLE_1)
	v_and_b32_e32 v9, 0xffff, v1
	s_wait_kmcnt 0x0
	s_mul_u64 s[18:19], s[18:19], s[26:27]
	s_add_nc_u64 s[18:19], s[18:19], s[34:35]
	s_cbranch_vccz .LBB0_16
; %bb.13:
	v_mad_co_u64_u32 v[1:2], null, s14, v9, 0
	v_mad_co_u64_u32 v[3:4], null, s12, v6, 0
	v_add_nc_u32_e32 v16, 10, v6
	v_add_nc_u32_e32 v18, 20, v6
	s_lshl_b64 s[28:29], s[18:19], 4
	v_add_nc_u32_e32 v21, 40, v6
	s_add_nc_u64 s[28:29], s[0:1], s[28:29]
	v_mad_co_u64_u32 v[10:11], null, s12, v16, 0
	v_mad_co_u64_u32 v[7:8], null, s15, v9, v[2:3]
	v_add_nc_u32_e32 v19, 30, v6
	v_mad_co_u64_u32 v[12:13], null, s12, v18, 0
	v_mad_co_u64_u32 v[4:5], null, s13, v6, v[4:5]
	s_delay_alu instid0(VALU_DEP_4) | instskip(NEXT) | instid1(VALU_DEP_4)
	v_dual_mov_b32 v5, v11 :: v_dual_mov_b32 v2, v7
	v_mad_co_u64_u32 v[7:8], null, s12, v19, 0
	v_mad_co_u64_u32 v[26:27], null, s12, v21, 0
	s_delay_alu instid0(VALU_DEP_3)
	v_lshlrev_b64_e32 v[14:15], 4, v[1:2]
	v_mov_b32_e32 v1, v13
	v_mad_co_u64_u32 v[16:17], null, s13, v16, v[5:6]
	v_lshlrev_b64_e32 v[4:5], 4, v[3:4]
	v_add_nc_u32_e32 v35, 60, v6
	v_add_co_u32 v2, vcc_lo, s28, v14
	v_add_nc_u32_e32 v22, 50, v6
	v_add_co_ci_u32_e32 v3, vcc_lo, s29, v15, vcc_lo
	s_delay_alu instid0(VALU_DEP_3) | instskip(SKIP_3) | instid1(VALU_DEP_3)
	v_mad_co_u64_u32 v[13:14], null, s13, v18, v[1:2]
	v_mov_b32_e32 v1, v8
	v_add_co_u32 v4, vcc_lo, v2, v4
	v_mad_co_u64_u32 v[28:29], null, s12, v22, 0
	v_mad_co_u64_u32 v[18:19], null, s13, v19, v[1:2]
	v_mov_b32_e32 v11, v16
	s_wait_alu 0xfffd
	v_add_co_ci_u32_e32 v5, vcc_lo, v3, v5, vcc_lo
	v_lshlrev_b64_e32 v[19:20], 4, v[12:13]
	v_dual_mov_b32 v1, v27 :: v_dual_add_nc_u32 v36, 0x46, v6
	v_mov_b32_e32 v8, v18
	v_lshlrev_b64_e32 v[10:11], 4, v[10:11]
	v_mad_co_u64_u32 v[30:31], null, s12, v35, 0
	v_add_nc_u32_e32 v39, 0x5a, v6
	s_delay_alu instid0(VALU_DEP_4) | instskip(SKIP_1) | instid1(VALU_DEP_4)
	v_lshlrev_b64_e32 v[7:8], 4, v[7:8]
	s_mov_b32 s29, 0
	v_add_co_u32 v14, vcc_lo, v2, v10
	s_wait_alu 0xfffd
	v_add_co_ci_u32_e32 v15, vcc_lo, v3, v11, vcc_lo
	s_clause 0x1
	global_load_b128 v[10:13], v[4:5], off
	global_load_b128 v[14:17], v[14:15], off
	v_add_co_u32 v4, vcc_lo, v2, v19
	v_mad_co_u64_u32 v[18:19], null, s13, v21, v[1:2]
	v_mov_b32_e32 v1, v29
	s_wait_alu 0xfffd
	v_add_co_ci_u32_e32 v5, vcc_lo, v3, v20, vcc_lo
	v_add_co_u32 v7, vcc_lo, v2, v7
	s_delay_alu instid0(VALU_DEP_3)
	v_mad_co_u64_u32 v[32:33], null, s13, v22, v[1:2]
	v_mad_co_u64_u32 v[33:34], null, s12, v36, 0
	v_mov_b32_e32 v1, v31
	s_wait_alu 0xfffd
	v_add_co_ci_u32_e32 v8, vcc_lo, v3, v8, vcc_lo
	v_mov_b32_e32 v27, v18
	v_mov_b32_e32 v29, v32
	v_or_b32_e32 v32, 0x50, v6
	s_clause 0x1
	global_load_b128 v[18:21], v[4:5], off
	global_load_b128 v[22:25], v[7:8], off
	v_mad_co_u64_u32 v[7:8], null, s13, v35, v[1:2]
	v_mov_b32_e32 v1, v34
	v_lshlrev_b64_e32 v[4:5], 4, v[26:27]
	v_mad_co_u64_u32 v[26:27], null, s12, v32, 0
	s_mov_b32 s28, 0
	s_delay_alu instid0(VALU_DEP_3) | instskip(SKIP_1) | instid1(VALU_DEP_4)
	v_mad_co_u64_u32 v[34:35], null, s13, v36, v[1:2]
	v_mad_co_u64_u32 v[35:36], null, s12, v39, 0
	v_add_co_u32 v4, vcc_lo, v2, v4
	s_delay_alu instid0(VALU_DEP_4)
	v_mov_b32_e32 v1, v27
	v_lshlrev_b64_e32 v[27:28], 4, v[28:29]
	v_mov_b32_e32 v31, v7
	s_wait_alu 0xfffd
	v_add_co_ci_u32_e32 v5, vcc_lo, v3, v5, vcc_lo
	v_mad_co_u64_u32 v[7:8], null, s13, v32, v[1:2]
	v_mov_b32_e32 v1, v36
	v_add_co_u32 v37, vcc_lo, v2, v27
	s_wait_alu 0xfffd
	v_add_co_ci_u32_e32 v38, vcc_lo, v3, v28, vcc_lo
	v_lshlrev_b64_e32 v[28:29], 4, v[30:31]
	v_mad_co_u64_u32 v[30:31], null, s13, v39, v[1:2]
	v_mov_b32_e32 v27, v7
	v_lshlrev_b64_e32 v[31:32], 4, v[33:34]
	s_mov_b32 s31, exec_lo
	s_delay_alu instid0(VALU_DEP_4) | instskip(NEXT) | instid1(VALU_DEP_3)
	v_add_co_u32 v7, vcc_lo, v2, v28
	v_lshlrev_b64_e32 v[26:27], 4, v[26:27]
	v_mov_b32_e32 v36, v30
	s_wait_alu 0xfffd
	v_add_co_ci_u32_e32 v8, vcc_lo, v3, v29, vcc_lo
	v_add_co_u32 v39, vcc_lo, v2, v31
	s_delay_alu instid0(VALU_DEP_3)
	v_lshlrev_b64_e32 v[28:29], 4, v[35:36]
	s_wait_alu 0xfffd
	v_add_co_ci_u32_e32 v40, vcc_lo, v3, v32, vcc_lo
	v_add_co_u32 v42, vcc_lo, v2, v26
	s_wait_alu 0xfffd
	v_add_co_ci_u32_e32 v43, vcc_lo, v3, v27, vcc_lo
	v_add_co_u32 v46, vcc_lo, v2, v28
	s_wait_alu 0xfffd
	v_add_co_ci_u32_e32 v47, vcc_lo, v3, v29, vcc_lo
	s_clause 0x5
	global_load_b128 v[26:29], v[4:5], off
	global_load_b128 v[30:33], v[37:38], off
	;; [unrolled: 1-line block ×6, first 2 shown]
	v_mad_u32_u24 v7, 0x650, v9, 0
	s_delay_alu instid0(VALU_DEP_1)
	v_lshl_add_u32 v1, v6, 4, v7
	s_wait_loadcnt 0x9
	ds_store_b128 v1, v[10:13]
	s_wait_loadcnt 0x8
	ds_store_b128 v1, v[14:17] offset:160
	s_wait_loadcnt 0x7
	ds_store_b128 v1, v[18:21] offset:320
	;; [unrolled: 2-line block ×9, first 2 shown]
                                        ; implicit-def: $vgpr1
	v_cmpx_gt_u32_e32 10, v0
; %bb.14:
	v_or_b32_e32 v1, 0x64, v6
	s_mov_b32 s28, exec_lo
; %bb.15:
	s_wait_alu 0xfffe
	s_or_b32 exec_lo, exec_lo, s31
	s_delay_alu instid0(SALU_CYCLE_1)
	s_and_b32 vcc_lo, exec_lo, s29
	s_wait_alu 0xfffe
	s_cbranch_vccnz .LBB0_17
	s_branch .LBB0_25
.LBB0_16:
                                        ; implicit-def: $vgpr7
                                        ; implicit-def: $vgpr2_vgpr3
                                        ; implicit-def: $vgpr1
	s_cbranch_execz .LBB0_25
.LBB0_17:
	v_add_co_u32 v1, s29, s22, v9
	s_wait_alu 0xf1ff
	v_add_co_ci_u32_e64 v2, null, s23, 0, s29
                                        ; implicit-def: $vgpr7
	s_delay_alu instid0(VALU_DEP_1)
	v_cmp_gt_u64_e32 vcc_lo, s[20:21], v[1:2]
                                        ; implicit-def: $vgpr2_vgpr3
                                        ; implicit-def: $vgpr1
	s_and_saveexec_b32 s29, vcc_lo
	s_cbranch_execz .LBB0_24
; %bb.18:
	v_mad_co_u64_u32 v[1:2], null, s14, v9, 0
	v_mad_co_u64_u32 v[3:4], null, s12, v6, 0
	v_add_nc_u32_e32 v16, 10, v6
	v_add_nc_u32_e32 v18, 20, v6
	s_lshl_b64 s[18:19], s[18:19], 4
	v_add_nc_u32_e32 v21, 40, v6
	s_add_nc_u64 s[0:1], s[0:1], s[18:19]
	v_mad_co_u64_u32 v[10:11], null, s12, v16, 0
	v_mad_co_u64_u32 v[7:8], null, s15, v9, v[2:3]
	v_add_nc_u32_e32 v19, 30, v6
	v_mad_co_u64_u32 v[12:13], null, s12, v18, 0
	v_mad_co_u64_u32 v[4:5], null, s13, v6, v[4:5]
	s_delay_alu instid0(VALU_DEP_4) | instskip(NEXT) | instid1(VALU_DEP_4)
	v_dual_mov_b32 v5, v11 :: v_dual_mov_b32 v2, v7
	v_mad_co_u64_u32 v[7:8], null, s12, v19, 0
	v_mad_co_u64_u32 v[26:27], null, s12, v21, 0
	s_delay_alu instid0(VALU_DEP_3)
	v_lshlrev_b64_e32 v[14:15], 4, v[1:2]
	v_mov_b32_e32 v1, v13
	v_mad_co_u64_u32 v[16:17], null, s13, v16, v[5:6]
	v_lshlrev_b64_e32 v[4:5], 4, v[3:4]
	v_add_nc_u32_e32 v35, 60, v6
	v_add_co_u32 v2, vcc_lo, s0, v14
	v_add_nc_u32_e32 v22, 50, v6
	s_wait_alu 0xfffd
	v_add_co_ci_u32_e32 v3, vcc_lo, s1, v15, vcc_lo
	s_delay_alu instid0(VALU_DEP_3) | instskip(SKIP_3) | instid1(VALU_DEP_3)
	v_mad_co_u64_u32 v[13:14], null, s13, v18, v[1:2]
	v_mov_b32_e32 v1, v8
	v_add_co_u32 v4, vcc_lo, v2, v4
	v_mad_co_u64_u32 v[28:29], null, s12, v22, 0
	v_mad_co_u64_u32 v[18:19], null, s13, v19, v[1:2]
	v_mov_b32_e32 v11, v16
	s_wait_alu 0xfffd
	v_add_co_ci_u32_e32 v5, vcc_lo, v3, v5, vcc_lo
	v_lshlrev_b64_e32 v[19:20], 4, v[12:13]
	v_dual_mov_b32 v1, v27 :: v_dual_add_nc_u32 v36, 0x46, v6
	v_mov_b32_e32 v8, v18
	v_lshlrev_b64_e32 v[10:11], 4, v[10:11]
	v_mad_co_u64_u32 v[30:31], null, s12, v35, 0
	v_add_nc_u32_e32 v39, 0x5a, v6
	s_delay_alu instid0(VALU_DEP_4) | instskip(SKIP_1) | instid1(VALU_DEP_4)
	v_lshlrev_b64_e32 v[7:8], 4, v[7:8]
	s_or_b64 s[14:15], s[16:17], s[20:21]
	v_add_co_u32 v14, vcc_lo, v2, v10
	s_wait_alu 0xfffd
	v_add_co_ci_u32_e32 v15, vcc_lo, v3, v11, vcc_lo
	s_clause 0x1
	global_load_b128 v[10:13], v[4:5], off
	global_load_b128 v[14:17], v[14:15], off
	v_add_co_u32 v4, vcc_lo, v2, v19
	v_mad_co_u64_u32 v[18:19], null, s13, v21, v[1:2]
	v_mov_b32_e32 v1, v29
	s_wait_alu 0xfffd
	v_add_co_ci_u32_e32 v5, vcc_lo, v3, v20, vcc_lo
	v_add_co_u32 v7, vcc_lo, v2, v7
	s_delay_alu instid0(VALU_DEP_3)
	v_mad_co_u64_u32 v[32:33], null, s13, v22, v[1:2]
	v_mad_co_u64_u32 v[33:34], null, s12, v36, 0
	v_mov_b32_e32 v1, v31
	s_wait_alu 0xfffd
	v_add_co_ci_u32_e32 v8, vcc_lo, v3, v8, vcc_lo
	v_mov_b32_e32 v27, v18
	v_mov_b32_e32 v29, v32
	v_or_b32_e32 v32, 0x50, v6
	s_clause 0x1
	global_load_b128 v[18:21], v[4:5], off
	global_load_b128 v[22:25], v[7:8], off
	v_mad_co_u64_u32 v[7:8], null, s13, v35, v[1:2]
	v_mov_b32_e32 v1, v34
	v_lshlrev_b64_e32 v[4:5], 4, v[26:27]
	v_mad_co_u64_u32 v[26:27], null, s12, v32, 0
	s_mov_b32 s14, 0
	s_delay_alu instid0(VALU_DEP_3) | instskip(SKIP_1) | instid1(VALU_DEP_4)
	v_mad_co_u64_u32 v[34:35], null, s13, v36, v[1:2]
	v_mad_co_u64_u32 v[35:36], null, s12, v39, 0
	v_add_co_u32 v4, vcc_lo, v2, v4
	s_delay_alu instid0(VALU_DEP_4)
	v_mov_b32_e32 v1, v27
	v_lshlrev_b64_e32 v[27:28], 4, v[28:29]
	v_mov_b32_e32 v31, v7
	s_wait_alu 0xfffd
	v_add_co_ci_u32_e32 v5, vcc_lo, v3, v5, vcc_lo
	v_mad_co_u64_u32 v[7:8], null, s13, v32, v[1:2]
	v_mov_b32_e32 v1, v36
	v_add_co_u32 v37, vcc_lo, v2, v27
	s_wait_alu 0xfffd
	v_add_co_ci_u32_e32 v38, vcc_lo, v3, v28, vcc_lo
	v_lshlrev_b64_e32 v[28:29], 4, v[30:31]
	v_mad_co_u64_u32 v[30:31], null, s13, v39, v[1:2]
	v_mov_b32_e32 v27, v7
	v_lshlrev_b64_e32 v[31:32], 4, v[33:34]
	s_wait_alu 0xfffe
	s_cmp_lg_u64 s[14:15], 0
	v_add_co_u32 v7, vcc_lo, v2, v28
	v_lshlrev_b64_e32 v[26:27], 4, v[26:27]
	v_mov_b32_e32 v36, v30
	s_wait_alu 0xfffd
	v_add_co_ci_u32_e32 v8, vcc_lo, v3, v29, vcc_lo
	v_add_co_u32 v39, vcc_lo, v2, v31
	s_delay_alu instid0(VALU_DEP_3)
	v_lshlrev_b64_e32 v[28:29], 4, v[35:36]
	s_wait_alu 0xfffd
	v_add_co_ci_u32_e32 v40, vcc_lo, v3, v32, vcc_lo
	v_add_co_u32 v42, vcc_lo, v2, v26
	s_wait_alu 0xfffd
	v_add_co_ci_u32_e32 v43, vcc_lo, v3, v27, vcc_lo
	v_add_co_u32 v46, vcc_lo, v2, v28
	s_wait_alu 0xfffd
	v_add_co_ci_u32_e32 v47, vcc_lo, v3, v29, vcc_lo
	s_clause 0x5
	global_load_b128 v[26:29], v[4:5], off
	global_load_b128 v[30:33], v[37:38], off
	;; [unrolled: 1-line block ×6, first 2 shown]
	v_mad_u32_u24 v7, 0x650, v9, 0
	s_delay_alu instid0(VALU_DEP_1)
	v_lshl_add_u32 v1, v6, 4, v7
	s_wait_loadcnt 0x9
	ds_store_b128 v1, v[10:13]
	s_wait_loadcnt 0x8
	ds_store_b128 v1, v[14:17] offset:160
	s_wait_loadcnt 0x7
	ds_store_b128 v1, v[18:21] offset:320
	;; [unrolled: 2-line block ×9, first 2 shown]
	s_cbranch_scc0 .LBB0_38
; %bb.19:
	s_cvt_f32_u32 s0, s20
	s_cvt_f32_u32 s1, s21
	s_sub_nc_u64 s[18:19], 0, s[20:21]
	s_mov_b32 s35, s14
	s_mov_b32 s39, s14
	s_wait_alu 0xfffe
	s_fmamk_f32 s0, s1, 0x4f800000, s0
	s_wait_alu 0xfffe
	s_delay_alu instid0(SALU_CYCLE_2) | instskip(NEXT) | instid1(TRANS32_DEP_1)
	v_s_rcp_f32 s0, s0
	s_mul_f32 s0, s0, 0x5f7ffffc
	s_wait_alu 0xfffe
	s_delay_alu instid0(SALU_CYCLE_2) | instskip(SKIP_1) | instid1(SALU_CYCLE_2)
	s_mul_f32 s1, s0, 0x2f800000
	s_wait_alu 0xfffe
	s_trunc_f32 s1, s1
	s_wait_alu 0xfffe
	s_delay_alu instid0(SALU_CYCLE_2) | instskip(SKIP_2) | instid1(SALU_CYCLE_1)
	s_fmamk_f32 s0, s1, 0xcf800000, s0
	s_cvt_u32_f32 s1, s1
	s_wait_alu 0xfffe
	s_cvt_u32_f32 s0, s0
	s_wait_alu 0xfffe
	s_delay_alu instid0(SALU_CYCLE_2) | instskip(NEXT) | instid1(SALU_CYCLE_1)
	s_mul_u64 s[36:37], s[18:19], s[0:1]
	s_mul_hi_u32 s41, s0, s37
	s_mul_i32 s40, s0, s37
	s_mul_hi_u32 s34, s0, s36
	s_mul_i32 s31, s1, s36
	s_wait_alu 0xfffe
	s_add_nc_u64 s[34:35], s[34:35], s[40:41]
	s_mul_hi_u32 s15, s1, s36
	s_mul_hi_u32 s33, s1, s37
	s_add_co_u32 s31, s34, s31
	s_wait_alu 0xfffe
	s_add_co_ci_u32 s38, s35, s15
	s_mul_i32 s36, s1, s37
	s_add_co_ci_u32 s37, s33, 0
	s_delay_alu instid0(SALU_CYCLE_1) | instskip(SKIP_2) | instid1(VALU_DEP_1)
	s_add_nc_u64 s[34:35], s[38:39], s[36:37]
	s_mov_b32 s37, s14
	v_add_co_u32 v1, s15, s0, s34
	s_cmp_lg_u32 s15, 0
	s_add_co_ci_u32 s1, s1, s35
	s_delay_alu instid0(VALU_DEP_1) | instskip(SKIP_2) | instid1(VALU_DEP_1)
	v_readfirstlane_b32 s0, v1
	s_mov_b32 s35, s14
	s_wait_alu 0xfffe
	s_mul_u64 s[18:19], s[18:19], s[0:1]
	s_delay_alu instid0(SALU_CYCLE_1)
	s_mul_hi_u32 s39, s0, s19
	s_mul_i32 s38, s0, s19
	s_mul_hi_u32 s34, s0, s18
	s_mul_i32 s31, s1, s18
	s_wait_alu 0xfffe
	s_add_nc_u64 s[34:35], s[34:35], s[38:39]
	s_mul_hi_u32 s15, s1, s18
	s_mul_hi_u32 s0, s1, s19
	s_mul_i32 s18, s1, s19
	s_wait_alu 0xfffe
	s_add_co_u32 s19, s34, s31
	s_add_co_ci_u32 s36, s35, s15
	s_add_co_ci_u32 s19, s0, 0
	s_mov_b32 s35, s14
	s_add_nc_u64 s[18:19], s[36:37], s[18:19]
	s_delay_alu instid0(SALU_CYCLE_1) | instskip(NEXT) | instid1(VALU_DEP_1)
	v_add_co_u32 v1, s0, v1, s18
	s_cmp_lg_u32 s0, 0
	s_add_co_ci_u32 s15, s1, s19
	s_delay_alu instid0(VALU_DEP_1)
	v_readfirstlane_b32 s19, v1
	s_wait_alu 0xfffe
	s_mul_hi_u32 s1, s16, s15
	s_mul_i32 s0, s16, s15
	s_mul_hi_u32 s31, s17, s15
	s_mul_i32 s18, s17, s15
	;; [unrolled: 2-line block ×3, first 2 shown]
	s_wait_alu 0xfffe
	s_add_nc_u64 s[0:1], s[34:35], s[0:1]
	s_mul_hi_u32 s19, s17, s19
	s_wait_alu 0xfffe
	s_add_co_u32 s0, s0, s15
	s_add_co_ci_u32 s36, s1, s19
	s_add_co_ci_u32 s19, s31, 0
	s_wait_alu 0xfffe
	s_add_nc_u64 s[0:1], s[36:37], s[18:19]
	s_wait_alu 0xfffe
	s_mul_u64 s[0:1], s[20:21], s[0:1]
	s_wait_alu 0xfffe
	v_sub_co_u32 v1, s0, s16, s0
	s_sub_co_i32 s15, s17, s1
	s_cmp_lg_u32 s0, 0
	s_delay_alu instid0(VALU_DEP_1)
	v_sub_co_u32 v4, s18, v1, s20
	s_wait_alu 0xfffe
	s_sub_co_ci_u32 s15, s15, s21
	s_cmp_lg_u32 s18, 0
	s_wait_alu 0xfffe
	s_sub_co_ci_u32 s19, s15, 0
	v_cmp_le_u32_e32 vcc_lo, s20, v4
	s_wait_alu 0xfffe
	s_cmp_ge_u32 s19, s21
	s_cselect_b32 s31, -1, 0
	s_cmp_eq_u32 s19, s21
	s_wait_alu 0xfffd
	v_cndmask_b32_e64 v5, 0, -1, vcc_lo
	s_cselect_b32 vcc_lo, -1, 0
	s_cmp_lg_u32 s18, 0
	v_sub_co_u32 v8, s18, v4, s20
	s_sub_co_ci_u32 s15, s15, s21
	s_cmp_lg_u32 s18, 0
	s_wait_alu 0xfffe
	v_cndmask_b32_e32 v5, s31, v5, vcc_lo
	s_sub_co_ci_u32 s15, s15, 0
	s_cmp_lg_u32 s0, 0
	v_cmp_le_u32_e32 vcc_lo, s20, v1
	s_sub_co_ci_u32 s1, s17, s1
	s_wait_alu 0xfffe
	s_cmp_ge_u32 s1, s21
	s_wait_alu 0xfffd
	v_cndmask_b32_e64 v10, 0, -1, vcc_lo
	s_cselect_b32 s17, -1, 0
	s_cmp_eq_u32 s1, s21
	v_cmp_ne_u32_e32 vcc_lo, 0, v5
	s_cselect_b32 s0, -1, 0
	v_mov_b32_e32 v5, s15
	s_wait_alu 0xfffe
	v_cndmask_b32_e64 v10, s17, v10, s0
	s_wait_alu 0xfffd
	v_cndmask_b32_e32 v4, v4, v8, vcc_lo
	v_cndmask_b32_e32 v5, s19, v5, vcc_lo
	s_delay_alu instid0(VALU_DEP_3) | instskip(SKIP_1) | instid1(VALU_DEP_2)
	v_cmp_ne_u32_e32 vcc_lo, 0, v10
	s_wait_alu 0xfffd
	v_cndmask_b32_e32 v5, s1, v5, vcc_lo
	v_cndmask_b32_e32 v4, v1, v4, vcc_lo
	s_and_not1_b32 vcc_lo, exec_lo, s14
	s_wait_alu 0xfffe
	s_cbranch_vccnz .LBB0_21
.LBB0_20:
	v_cvt_f32_u32_e32 v1, s20
	s_sub_co_i32 s0, 0, s20
	v_mov_b32_e32 v5, 0
	s_delay_alu instid0(VALU_DEP_2) | instskip(NEXT) | instid1(TRANS32_DEP_1)
	v_rcp_iflag_f32_e32 v1, v1
	v_mul_f32_e32 v1, 0x4f7ffffe, v1
	s_delay_alu instid0(VALU_DEP_1) | instskip(SKIP_1) | instid1(VALU_DEP_1)
	v_cvt_u32_f32_e32 v1, v1
	s_wait_alu 0xfffe
	v_mul_lo_u32 v4, s0, v1
	s_delay_alu instid0(VALU_DEP_1) | instskip(NEXT) | instid1(VALU_DEP_1)
	v_mul_hi_u32 v4, v1, v4
	v_add_nc_u32_e32 v1, v1, v4
	s_delay_alu instid0(VALU_DEP_1) | instskip(NEXT) | instid1(VALU_DEP_1)
	v_mul_hi_u32 v1, s16, v1
	v_mul_lo_u32 v1, v1, s20
	s_delay_alu instid0(VALU_DEP_1) | instskip(NEXT) | instid1(VALU_DEP_1)
	v_sub_nc_u32_e32 v1, s16, v1
	v_subrev_nc_u32_e32 v4, s20, v1
	v_cmp_le_u32_e32 vcc_lo, s20, v1
	s_wait_alu 0xfffd
	s_delay_alu instid0(VALU_DEP_2) | instskip(NEXT) | instid1(VALU_DEP_1)
	v_cndmask_b32_e32 v1, v1, v4, vcc_lo
	v_subrev_nc_u32_e32 v4, s20, v1
	v_cmp_le_u32_e32 vcc_lo, s20, v1
	s_wait_alu 0xfffd
	s_delay_alu instid0(VALU_DEP_2)
	v_cndmask_b32_e32 v4, v1, v4, vcc_lo
.LBB0_21:
	s_delay_alu instid0(VALU_DEP_1) | instskip(SKIP_4) | instid1(VALU_DEP_1)
	v_sub_co_u32 v4, vcc_lo, 10, v4
	v_mov_b32_e32 v1, 0
	s_wait_alu 0xfffd
	v_sub_co_ci_u32_e32 v5, vcc_lo, 0, v5, vcc_lo
	s_mov_b32 s0, s28
	v_cmp_gt_u64_e32 vcc_lo, v[4:5], v[0:1]
                                        ; implicit-def: $vgpr1
	s_and_saveexec_b32 s1, vcc_lo
; %bb.22:
	v_add_nc_u32_e32 v1, 0x64, v6
	s_or_b32 s0, s28, exec_lo
; %bb.23:
	s_wait_alu 0xfffe
	s_or_b32 exec_lo, exec_lo, s1
	s_delay_alu instid0(SALU_CYCLE_1)
	s_and_not1_b32 s1, s28, exec_lo
	s_and_b32 s0, s0, exec_lo
	s_wait_alu 0xfffe
	s_or_b32 s28, s1, s0
.LBB0_24:
	s_wait_alu 0xfffe
	s_or_b32 exec_lo, exec_lo, s29
.LBB0_25:
	s_and_saveexec_b32 s0, s28
	s_cbranch_execz .LBB0_27
; %bb.26:
	v_mad_co_u64_u32 v[4:5], null, s12, v1, 0
	s_delay_alu instid0(VALU_DEP_1) | instskip(NEXT) | instid1(VALU_DEP_1)
	v_mad_co_u64_u32 v[10:11], null, s13, v1, v[5:6]
	v_mov_b32_e32 v5, v10
	s_delay_alu instid0(VALU_DEP_1) | instskip(NEXT) | instid1(VALU_DEP_1)
	v_lshlrev_b64_e32 v[4:5], 4, v[4:5]
	v_add_co_u32 v1, vcc_lo, v2, v4
	s_wait_alu 0xfffd
	s_delay_alu instid0(VALU_DEP_2)
	v_add_co_ci_u32_e32 v2, vcc_lo, v3, v5, vcc_lo
	global_load_b128 v[1:4], v[1:2], off
	s_wait_loadcnt 0x0
	ds_store_2addr_b64 v7, v[1:2], v[3:4] offset0:200 offset1:201
.LBB0_27:
	s_wait_alu 0xfffe
	s_or_b32 exec_lo, exec_lo, s0
	s_mov_b32 s0, 0
	s_mov_b32 s12, 0x99986000
	s_movk_i32 s13, 0x59
	s_wait_alu 0xfffe
	s_mov_b32 s1, s0
	s_mov_b32 s19, s0
	s_wait_alu 0xfffe
	s_add_nc_u64 s[12:13], s[0:1], s[12:13]
	global_wb scope:SCOPE_SE
	s_wait_dscnt 0x0
	s_wait_alu 0xfffe
	s_add_co_i32 s13, s13, 0x19999940
	s_barrier_signal -1
	s_wait_alu 0xfffe
	s_mul_u64 s[14:15], s[12:13], -10
	s_barrier_wait -1
	s_wait_alu 0xfffe
	s_mul_hi_u32 s17, s12, s15
	s_mul_i32 s16, s12, s15
	s_mul_hi_u32 s18, s12, s14
	s_mul_hi_u32 s1, s13, s14
	s_mul_i32 s14, s13, s14
	s_wait_alu 0xfffe
	s_add_nc_u64 s[16:17], s[18:19], s[16:17]
	s_mul_hi_u32 s18, s13, s15
	s_wait_alu 0xfffe
	s_add_co_u32 s14, s16, s14
	s_add_co_ci_u32 s14, s17, s1
	s_add_co_ci_u32 s17, s18, 0
	s_mul_i32 s16, s13, s15
	s_mov_b32 s15, s0
	global_inv scope:SCOPE_SE
	s_wait_alu 0xfffe
	s_add_nc_u64 s[0:1], s[14:15], s[16:17]
	v_lshlrev_b32_e32 v12, 4, v9
	s_wait_alu 0xfffe
	v_add_co_u32 v3, s0, s12, s0
	s_delay_alu instid0(VALU_DEP_1) | instskip(SKIP_4) | instid1(VALU_DEP_2)
	s_cmp_lg_u32 s0, 0
	v_add_co_u32 v5, s0, s22, v6
	s_wait_alu 0xf1ff
	v_add_co_ci_u32_e64 v6, null, s23, 0, s0
	s_add_co_ci_u32 s0, s13, s1
	v_mul_hi_u32 v7, v5, v3
	s_wait_alu 0xfffe
	v_mad_co_u64_u32 v[1:2], null, v5, s0, 0
	v_mad_co_u64_u32 v[3:4], null, v6, v3, 0
	s_delay_alu instid0(VALU_DEP_2) | instskip(SKIP_1) | instid1(VALU_DEP_3)
	v_add_co_u32 v7, vcc_lo, v7, v1
	s_wait_alu 0xfffd
	v_add_co_ci_u32_e32 v8, vcc_lo, 0, v2, vcc_lo
	v_mad_co_u64_u32 v[1:2], null, v6, s0, 0
	s_delay_alu instid0(VALU_DEP_3) | instskip(SKIP_1) | instid1(VALU_DEP_3)
	v_add_co_u32 v3, vcc_lo, v7, v3
	s_wait_alu 0xfffd
	v_add_co_ci_u32_e32 v3, vcc_lo, v8, v4, vcc_lo
	s_mov_b32 s0, exec_lo
	s_wait_alu 0xfffd
	s_delay_alu instid0(VALU_DEP_3) | instskip(NEXT) | instid1(VALU_DEP_2)
	v_add_co_ci_u32_e32 v2, vcc_lo, 0, v2, vcc_lo
	v_add_co_u32 v1, vcc_lo, v3, v1
	s_wait_alu 0xfffd
	s_delay_alu instid0(VALU_DEP_2) | instskip(NEXT) | instid1(VALU_DEP_2)
	v_add_co_ci_u32_e32 v3, vcc_lo, 0, v2, vcc_lo
	v_mad_co_u64_u32 v[1:2], null, v1, 10, 0
	s_delay_alu instid0(VALU_DEP_1) | instskip(NEXT) | instid1(VALU_DEP_2)
	v_mad_co_u64_u32 v[2:3], null, v3, 10, v[2:3]
	v_sub_co_u32 v1, vcc_lo, v5, v1
	s_wait_alu 0xfffd
	s_delay_alu instid0(VALU_DEP_2) | instskip(NEXT) | instid1(VALU_DEP_2)
	v_sub_co_ci_u32_e32 v2, vcc_lo, v6, v2, vcc_lo
	v_sub_co_u32 v3, vcc_lo, v1, 10
	s_wait_alu 0xfffd
	s_delay_alu instid0(VALU_DEP_2) | instskip(NEXT) | instid1(VALU_DEP_2)
	v_subrev_co_ci_u32_e32 v4, vcc_lo, 0, v2, vcc_lo
	v_cmp_lt_u32_e32 vcc_lo, 9, v3
	s_wait_alu 0xfffd
	v_cndmask_b32_e64 v5, 0, -1, vcc_lo
	v_cmp_lt_u32_e32 vcc_lo, 9, v1
	s_wait_alu 0xfffd
	v_cndmask_b32_e64 v6, 0, -1, vcc_lo
	v_cmp_eq_u32_e32 vcc_lo, 0, v4
	s_wait_alu 0xfffd
	v_dual_cndmask_b32 v4, -1, v5 :: v_dual_add_nc_u32 v5, -10, v3
	v_cmp_eq_u32_e32 vcc_lo, 0, v2
	s_wait_alu 0xfffd
	v_cndmask_b32_e32 v2, -1, v6, vcc_lo
	s_delay_alu instid0(VALU_DEP_3) | instskip(SKIP_2) | instid1(VALU_DEP_3)
	v_cmp_ne_u32_e32 vcc_lo, 0, v4
	s_wait_alu 0xfffd
	v_cndmask_b32_e32 v3, v3, v5, vcc_lo
	v_cmp_ne_u32_e32 vcc_lo, 0, v2
	s_wait_alu 0xfffd
	s_delay_alu instid0(VALU_DEP_2) | instskip(NEXT) | instid1(VALU_DEP_1)
	v_cndmask_b32_e32 v1, v1, v3, vcc_lo
	v_mul_u32_u24_e32 v11, 0x65, v1
	s_delay_alu instid0(VALU_DEP_1) | instskip(NEXT) | instid1(VALU_DEP_1)
	v_lshl_add_u32 v14, v11, 4, 0
	v_add_nc_u32_e32 v10, v14, v12
	v_sub_nc_u32_e32 v13, v14, v12
	ds_load_b64 v[5:6], v10
	ds_load_b64 v[7:8], v13 offset:1600
	s_wait_dscnt 0x0
	v_add_f64_e32 v[1:2], v[5:6], v[7:8]
	v_add_f64_e64 v[3:4], v[5:6], -v[7:8]
	v_cmpx_ne_u16_e32 0, v9
	s_wait_alu 0xfffe
	s_xor_b32 s0, exec_lo, s0
	s_cbranch_execz .LBB0_29
; %bb.28:
	global_load_b128 v[14:17], v12, s[8:9] offset:1440
	ds_load_b64 v[1:2], v13 offset:1608
	ds_load_b64 v[3:4], v10 offset:8
	v_add_f64_e32 v[18:19], v[5:6], v[7:8]
	v_add_f64_e64 v[20:21], v[5:6], -v[7:8]
	s_wait_dscnt 0x0
	v_add_f64_e32 v[5:6], v[1:2], v[3:4]
	v_add_f64_e64 v[1:2], v[3:4], -v[1:2]
	s_wait_loadcnt 0x0
	s_delay_alu instid0(VALU_DEP_3) | instskip(SKIP_1) | instid1(VALU_DEP_3)
	v_fma_f64 v[3:4], v[20:21], v[16:17], v[18:19]
	v_fma_f64 v[7:8], -v[20:21], v[16:17], v[18:19]
	v_fma_f64 v[18:19], v[5:6], v[16:17], -v[1:2]
	v_fma_f64 v[16:17], v[5:6], v[16:17], v[1:2]
	s_delay_alu instid0(VALU_DEP_4) | instskip(NEXT) | instid1(VALU_DEP_4)
	v_fma_f64 v[1:2], -v[5:6], v[14:15], v[3:4]
	v_fma_f64 v[5:6], v[5:6], v[14:15], v[7:8]
	s_delay_alu instid0(VALU_DEP_4) | instskip(NEXT) | instid1(VALU_DEP_4)
	v_fma_f64 v[7:8], v[20:21], v[14:15], v[18:19]
	v_fma_f64 v[3:4], v[20:21], v[14:15], v[16:17]
                                        ; implicit-def: $vgpr14
	ds_store_b128 v13, v[5:8] offset:1600
.LBB0_29:
	s_wait_alu 0xfffe
	s_and_not1_saveexec_b32 s0, s0
	s_cbranch_execz .LBB0_31
; %bb.30:
	ds_load_b128 v[5:8], v14 offset:800
	s_wait_dscnt 0x0
	v_add_f64_e32 v[5:6], v[5:6], v[5:6]
	v_mul_f64_e32 v[7:8], -2.0, v[7:8]
	ds_store_b128 v14, v[5:8] offset:800
.LBB0_31:
	s_wait_alu 0xfffe
	s_or_b32 exec_lo, exec_lo, s0
	s_add_nc_u64 s[0:1], s[8:9], 0x5a0
	s_mov_b32 s12, 0x134454ff
	s_clause 0x1
	global_load_b128 v[5:8], v12, s[0:1] offset:160
	global_load_b128 v[14:17], v12, s[0:1] offset:320
	ds_store_b128 v10, v[1:4]
	ds_load_b128 v[1:4], v10 offset:160
	ds_load_b128 v[18:21], v13 offset:1440
	global_load_b128 v[22:25], v12, s[0:1] offset:480
	s_mov_b32 s13, 0x3fee6f0e
	s_mov_b32 s16, 0x4755a5e
	;; [unrolled: 1-line block ×4, first 2 shown]
	s_wait_alu 0xfffe
	s_mov_b32 s14, s16
	s_mov_b32 s18, 0x372fe950
	;; [unrolled: 1-line block ×5, first 2 shown]
	s_and_b32 vcc_lo, exec_lo, s30
	s_wait_dscnt 0x0
	v_add_f64_e32 v[26:27], v[1:2], v[18:19]
	v_add_f64_e32 v[28:29], v[20:21], v[3:4]
	v_add_f64_e64 v[30:31], v[1:2], -v[18:19]
	v_add_f64_e64 v[1:2], v[3:4], -v[20:21]
	s_wait_loadcnt 0x2
	s_delay_alu instid0(VALU_DEP_2) | instskip(NEXT) | instid1(VALU_DEP_2)
	v_fma_f64 v[3:4], v[30:31], v[7:8], v[26:27]
	v_fma_f64 v[18:19], v[28:29], v[7:8], v[1:2]
	v_fma_f64 v[20:21], -v[30:31], v[7:8], v[26:27]
	v_fma_f64 v[7:8], v[28:29], v[7:8], -v[1:2]
	s_delay_alu instid0(VALU_DEP_4) | instskip(NEXT) | instid1(VALU_DEP_4)
	v_fma_f64 v[1:2], -v[28:29], v[5:6], v[3:4]
	v_fma_f64 v[3:4], v[30:31], v[5:6], v[18:19]
	s_delay_alu instid0(VALU_DEP_4) | instskip(NEXT) | instid1(VALU_DEP_4)
	v_fma_f64 v[18:19], v[28:29], v[5:6], v[20:21]
	v_fma_f64 v[20:21], v[30:31], v[5:6], v[7:8]
	ds_store_b128 v10, v[1:4] offset:160
	ds_store_b128 v13, v[18:21] offset:1440
	ds_load_b128 v[1:4], v10 offset:320
	ds_load_b128 v[5:8], v13 offset:1280
	global_load_b128 v[18:21], v12, s[0:1] offset:640
	s_mov_b32 s1, 0xbfee6f0e
	s_mov_b32 s0, s12
	s_wait_dscnt 0x0
	v_add_f64_e32 v[26:27], v[1:2], v[5:6]
	v_add_f64_e32 v[28:29], v[7:8], v[3:4]
	v_add_f64_e64 v[30:31], v[1:2], -v[5:6]
	v_add_f64_e64 v[1:2], v[3:4], -v[7:8]
	s_wait_loadcnt 0x2
	s_delay_alu instid0(VALU_DEP_2) | instskip(NEXT) | instid1(VALU_DEP_2)
	v_fma_f64 v[3:4], v[30:31], v[16:17], v[26:27]
	v_fma_f64 v[5:6], v[28:29], v[16:17], v[1:2]
	v_fma_f64 v[7:8], -v[30:31], v[16:17], v[26:27]
	v_fma_f64 v[16:17], v[28:29], v[16:17], -v[1:2]
	s_delay_alu instid0(VALU_DEP_4) | instskip(NEXT) | instid1(VALU_DEP_4)
	v_fma_f64 v[1:2], -v[28:29], v[14:15], v[3:4]
	v_fma_f64 v[3:4], v[30:31], v[14:15], v[5:6]
	s_delay_alu instid0(VALU_DEP_4) | instskip(NEXT) | instid1(VALU_DEP_4)
	v_fma_f64 v[5:6], v[28:29], v[14:15], v[7:8]
	v_fma_f64 v[7:8], v[30:31], v[14:15], v[16:17]
	ds_store_b128 v10, v[1:4] offset:320
	ds_store_b128 v13, v[5:8] offset:1280
	ds_load_b128 v[1:4], v10 offset:480
	ds_load_b128 v[5:8], v13 offset:1120
	s_wait_dscnt 0x0
	v_add_f64_e32 v[14:15], v[1:2], v[5:6]
	v_add_f64_e32 v[16:17], v[7:8], v[3:4]
	v_add_f64_e64 v[26:27], v[1:2], -v[5:6]
	v_add_f64_e64 v[1:2], v[3:4], -v[7:8]
	s_wait_loadcnt 0x1
	s_delay_alu instid0(VALU_DEP_2) | instskip(NEXT) | instid1(VALU_DEP_2)
	v_fma_f64 v[3:4], v[26:27], v[24:25], v[14:15]
	v_fma_f64 v[5:6], v[16:17], v[24:25], v[1:2]
	v_fma_f64 v[7:8], -v[26:27], v[24:25], v[14:15]
	v_fma_f64 v[14:15], v[16:17], v[24:25], -v[1:2]
	s_delay_alu instid0(VALU_DEP_4) | instskip(NEXT) | instid1(VALU_DEP_4)
	v_fma_f64 v[1:2], -v[16:17], v[22:23], v[3:4]
	v_fma_f64 v[3:4], v[26:27], v[22:23], v[5:6]
	s_delay_alu instid0(VALU_DEP_4) | instskip(NEXT) | instid1(VALU_DEP_4)
	v_fma_f64 v[5:6], v[16:17], v[22:23], v[7:8]
	v_fma_f64 v[7:8], v[26:27], v[22:23], v[14:15]
	ds_store_b128 v10, v[1:4] offset:480
	ds_store_b128 v13, v[5:8] offset:1120
	ds_load_b128 v[1:4], v10 offset:640
	ds_load_b128 v[5:8], v13 offset:960
	s_wait_dscnt 0x0
	v_add_f64_e32 v[14:15], v[1:2], v[5:6]
	v_add_f64_e32 v[16:17], v[7:8], v[3:4]
	v_add_f64_e64 v[22:23], v[1:2], -v[5:6]
	v_add_f64_e64 v[1:2], v[3:4], -v[7:8]
	s_wait_loadcnt 0x0
	s_delay_alu instid0(VALU_DEP_2) | instskip(NEXT) | instid1(VALU_DEP_2)
	v_fma_f64 v[3:4], v[22:23], v[20:21], v[14:15]
	v_fma_f64 v[5:6], v[16:17], v[20:21], v[1:2]
	v_fma_f64 v[7:8], -v[22:23], v[20:21], v[14:15]
	v_fma_f64 v[20:21], v[16:17], v[20:21], -v[1:2]
	v_lshlrev_b32_e32 v1, 4, v11
	s_delay_alu instid0(VALU_DEP_1)
	v_add3_u32 v1, 0, v12, v1
	v_fma_f64 v[2:3], -v[16:17], v[18:19], v[3:4]
	v_fma_f64 v[4:5], v[22:23], v[18:19], v[5:6]
	v_fma_f64 v[14:15], v[16:17], v[18:19], v[7:8]
	;; [unrolled: 1-line block ×3, first 2 shown]
	ds_store_b128 v10, v[2:5] offset:640
	ds_store_b128 v13, v[14:17] offset:960
	global_wb scope:SCOPE_SE
	s_wait_dscnt 0x0
	s_barrier_signal -1
	s_barrier_wait -1
	global_inv scope:SCOPE_SE
	global_wb scope:SCOPE_SE
	s_barrier_signal -1
	s_barrier_wait -1
	global_inv scope:SCOPE_SE
	ds_load_b128 v[2:5], v1 offset:800
	ds_load_b128 v[11:14], v1 offset:1120
	;; [unrolled: 1-line block ×9, first 2 shown]
	s_wait_dscnt 0x7
	v_add_f64_e32 v[6:7], v[2:3], v[11:12]
	v_add_f64_e32 v[47:48], v[4:5], v[13:14]
	s_wait_dscnt 0x5
	v_add_f64_e32 v[43:44], v[17:18], v[21:22]
	v_add_f64_e32 v[45:46], v[15:16], v[19:20]
	v_add_f64_e64 v[49:50], v[17:18], -v[21:22]
	v_add_f64_e64 v[53:54], v[2:3], -v[11:12]
	;; [unrolled: 1-line block ×4, first 2 shown]
	s_wait_dscnt 0x1
	v_add_f64_e32 v[61:62], v[31:32], v[35:36]
	s_wait_dscnt 0x0
	v_add_f64_e32 v[63:64], v[27:28], v[39:40]
	v_add_f64_e32 v[65:66], v[33:34], v[37:38]
	;; [unrolled: 1-line block ×3, first 2 shown]
	v_add_f64_e64 v[69:70], v[15:16], -v[2:3]
	v_add_f64_e64 v[71:72], v[19:20], -v[11:12]
	;; [unrolled: 1-line block ×4, first 2 shown]
	v_add_f64_e32 v[15:16], v[23:24], v[15:16]
	v_add_f64_e64 v[79:80], v[13:14], -v[21:22]
	v_add_f64_e64 v[85:86], v[21:22], -v[13:14]
	v_fma_f64 v[6:7], v[6:7], -0.5, v[23:24]
	v_fma_f64 v[47:48], v[47:48], -0.5, v[25:26]
	;; [unrolled: 1-line block ×4, first 2 shown]
	v_add_f64_e32 v[23:24], v[25:26], v[17:18]
	v_add_f64_e64 v[25:26], v[4:5], -v[17:18]
	v_add_f64_e64 v[17:18], v[17:18], -v[4:5]
	ds_load_b128 v[43:46], v10
	global_wb scope:SCOPE_SE
	s_wait_dscnt 0x0
	s_barrier_signal -1
	s_barrier_wait -1
	global_inv scope:SCOPE_SE
	v_add_f64_e32 v[69:70], v[69:70], v[71:72]
	v_add_f64_e64 v[71:72], v[33:34], -v[37:38]
	v_add_f64_e32 v[73:74], v[73:74], v[75:76]
	v_add_f64_e64 v[75:76], v[27:28], -v[39:40]
	v_add_f64_e32 v[2:3], v[15:16], v[2:3]
	v_add_f64_e32 v[89:90], v[43:44], v[27:28]
	v_fma_f64 v[61:62], v[61:62], -0.5, v[43:44]
	v_fma_f64 v[43:44], v[63:64], -0.5, v[43:44]
	;; [unrolled: 1-line block ×4, first 2 shown]
	v_add_f64_e32 v[45:46], v[45:46], v[29:30]
	v_add_f64_e64 v[67:68], v[29:30], -v[41:42]
	v_fma_f64 v[77:78], v[49:50], s[12:13], v[6:7]
	s_wait_alu 0xfffe
	v_fma_f64 v[6:7], v[49:50], s[0:1], v[6:7]
	v_fma_f64 v[81:82], v[53:54], s[12:13], v[55:56]
	;; [unrolled: 1-line block ×7, first 2 shown]
	v_add_f64_e32 v[25:26], v[25:26], v[79:80]
	v_add_f64_e32 v[17:18], v[17:18], v[85:86]
	v_add_f64_e64 v[85:86], v[29:30], -v[33:34]
	v_add_f64_e64 v[29:30], v[33:34], -v[29:30]
	v_add_f64_e32 v[4:5], v[23:24], v[4:5]
	v_add_f64_e32 v[2:3], v[2:3], v[11:12]
	;; [unrolled: 1-line block ×3, first 2 shown]
	v_add_f64_e64 v[45:46], v[41:42], -v[37:38]
	v_fma_f64 v[15:16], v[67:68], s[12:13], v[61:62]
	v_fma_f64 v[23:24], v[67:68], s[0:1], v[61:62]
	v_fma_f64 v[61:62], v[71:72], s[0:1], v[43:44]
	v_fma_f64 v[43:44], v[71:72], s[12:13], v[43:44]
	v_fma_f64 v[77:78], v[51:52], s[16:17], v[77:78]
	v_fma_f64 v[6:7], v[51:52], s[14:15], v[6:7]
	v_add_f64_e64 v[51:52], v[31:32], -v[35:36]
	v_fma_f64 v[79:80], v[59:60], s[14:15], v[81:82]
	v_fma_f64 v[81:82], v[49:50], s[14:15], v[83:84]
	;; [unrolled: 1-line block ×5, first 2 shown]
	v_add_f64_e64 v[59:60], v[27:28], -v[31:32]
	v_add_f64_e64 v[27:28], v[31:32], -v[27:28]
	v_add_f64_e32 v[31:32], v[89:90], v[31:32]
	v_add_f64_e64 v[83:84], v[39:40], -v[35:36]
	v_add_f64_e64 v[89:90], v[37:38], -v[41:42]
	v_fma_f64 v[47:48], v[53:54], s[14:15], v[47:48]
	v_fma_f64 v[53:54], v[75:76], s[0:1], v[63:64]
	;; [unrolled: 1-line block ×3, first 2 shown]
	v_add_f64_e64 v[87:88], v[35:36], -v[39:40]
	v_add_f64_e32 v[4:5], v[4:5], v[13:14]
	v_add_f64_e32 v[19:20], v[2:3], v[19:20]
	;; [unrolled: 1-line block ×4, first 2 shown]
	v_fma_f64 v[11:12], v[71:72], s[16:17], v[15:16]
	v_fma_f64 v[13:14], v[71:72], s[14:15], v[23:24]
	;; [unrolled: 1-line block ×13, first 2 shown]
	v_add_f64_e32 v[31:32], v[31:32], v[35:36]
	v_add_f64_e32 v[57:58], v[59:60], v[83:84]
	;; [unrolled: 1-line block ×3, first 2 shown]
	v_fma_f64 v[17:18], v[17:18], s[18:19], v[47:48]
	v_fma_f64 v[35:36], v[51:52], s[14:15], v[53:54]
	;; [unrolled: 1-line block ×3, first 2 shown]
	v_add_f64_e32 v[27:28], v[27:28], v[87:88]
	v_add_f64_e32 v[21:22], v[4:5], v[21:22]
	v_add_f64_e32 v[33:34], v[33:34], v[41:42]
	v_mul_f64_e32 v[47:48], s[28:29], v[77:78]
	v_mul_f64_e32 v[63:64], s[14:15], v[77:78]
	v_fma_f64 v[43:44], v[75:76], s[14:15], v[69:70]
	v_mul_f64_e32 v[53:54], s[12:13], v[79:80]
	v_fma_f64 v[51:52], v[75:76], s[16:17], v[65:66]
	v_mul_f64_e32 v[61:62], s[28:29], v[6:7]
	v_mul_f64_e32 v[65:66], s[0:1], v[49:50]
	;; [unrolled: 1-line block ×5, first 2 shown]
	v_add_f64_e32 v[31:32], v[31:32], v[39:40]
	v_fma_f64 v[39:40], v[57:58], s[18:19], v[11:12]
	v_fma_f64 v[41:42], v[57:58], s[18:19], v[13:14]
	;; [unrolled: 1-line block ×6, first 2 shown]
	v_add_f64_e32 v[4:5], v[33:34], v[21:22]
	v_add_f64_e64 v[13:14], v[33:34], -v[21:22]
	v_fma_f64 v[35:36], v[17:18], s[16:17], v[47:48]
	v_fma_f64 v[37:38], v[29:30], s[18:19], v[43:44]
	;; [unrolled: 1-line block ×4, first 2 shown]
	v_fma_f64 v[49:50], v[55:56], s[16:17], -v[61:62]
	v_fma_f64 v[55:56], v[79:80], s[18:19], v[65:66]
	v_fma_f64 v[51:52], v[29:30], s[18:19], v[51:52]
	v_fma_f64 v[47:48], v[25:26], s[12:13], -v[59:60]
	v_fma_f64 v[59:60], v[81:82], s[0:1], -v[67:68]
	;; [unrolled: 1-line block ×3, first 2 shown]
	v_add_f64_e32 v[2:3], v[31:32], v[19:20]
	v_add_f64_e64 v[11:12], v[31:32], -v[19:20]
	v_add_f64_e32 v[15:16], v[39:40], v[35:36]
	v_add_f64_e64 v[31:32], v[39:40], -v[35:36]
	v_add_f64_e32 v[19:20], v[57:58], v[43:44]
	v_add_f64_e32 v[17:18], v[73:74], v[53:54]
	v_add_f64_e32 v[27:28], v[41:42], v[49:50]
	v_add_f64_e32 v[21:22], v[37:38], v[55:56]
	v_add_f64_e64 v[33:34], v[73:74], -v[53:54]
	v_add_f64_e32 v[23:24], v[71:72], v[47:48]
	v_add_f64_e32 v[25:26], v[51:52], v[59:60]
	;; [unrolled: 1-line block ×3, first 2 shown]
	v_add_f64_e64 v[35:36], v[57:58], -v[43:44]
	v_add_f64_e64 v[37:38], v[37:38], -v[55:56]
	;; [unrolled: 1-line block ×6, first 2 shown]
	v_mul_u32_u24_e32 v6, 9, v9
	s_delay_alu instid0(VALU_DEP_1)
	v_lshlrev_b32_e32 v47, 4, v6
	v_mad_u32_u24 v6, 0x90, v9, v1
	ds_store_b128 v6, v[2:5]
	ds_store_b128 v6, v[15:18] offset:16
	ds_store_b128 v6, v[19:22] offset:32
	;; [unrolled: 1-line block ×9, first 2 shown]
	global_wb scope:SCOPE_SE
	s_wait_dscnt 0x0
	s_barrier_signal -1
	s_barrier_wait -1
	global_inv scope:SCOPE_SE
	s_clause 0x8
	global_load_b128 v[2:5], v47, s[8:9] offset:32
	global_load_b128 v[6:9], v47, s[8:9] offset:64
	;; [unrolled: 1-line block ×4, first 2 shown]
	global_load_b128 v[19:22], v47, s[8:9]
	global_load_b128 v[23:26], v47, s[8:9] offset:16
	global_load_b128 v[27:30], v47, s[8:9] offset:48
	;; [unrolled: 1-line block ×4, first 2 shown]
	ds_load_b128 v[39:42], v1 offset:480
	ds_load_b128 v[43:46], v1 offset:800
	;; [unrolled: 1-line block ×6, first 2 shown]
	s_mov_b32 s8, -1
	s_wait_loadcnt_dscnt 0x805
	v_mul_f64_e32 v[63:64], v[41:42], v[4:5]
	v_mul_f64_e32 v[4:5], v[39:40], v[4:5]
	s_wait_loadcnt_dscnt 0x704
	v_mul_f64_e32 v[65:66], v[45:46], v[8:9]
	v_mul_f64_e32 v[8:9], v[43:44], v[8:9]
	s_wait_loadcnt_dscnt 0x603
	v_mul_f64_e32 v[67:68], v[47:48], v[13:14]
	s_wait_loadcnt_dscnt 0x502
	v_mul_f64_e32 v[69:70], v[51:52], v[17:18]
	v_mul_f64_e32 v[17:18], v[53:54], v[17:18]
	;; [unrolled: 1-line block ×3, first 2 shown]
	s_wait_loadcnt_dscnt 0x401
	v_mul_f64_e32 v[71:72], v[57:58], v[21:22]
	v_mul_f64_e32 v[21:22], v[55:56], v[21:22]
	v_fma_f64 v[39:40], v[39:40], v[2:3], -v[63:64]
	v_fma_f64 v[41:42], v[41:42], v[2:3], v[4:5]
	v_fma_f64 v[43:44], v[43:44], v[6:7], -v[65:66]
	v_fma_f64 v[45:46], v[45:46], v[6:7], v[8:9]
	v_fma_f64 v[49:50], v[49:50], v[11:12], v[67:68]
	;; [unrolled: 1-line block ×3, first 2 shown]
	v_fma_f64 v[15:16], v[51:52], v[15:16], -v[17:18]
	v_fma_f64 v[17:18], v[47:48], v[11:12], -v[13:14]
	ds_load_b128 v[2:5], v1 offset:640
	ds_load_b128 v[6:9], v1 offset:960
	;; [unrolled: 1-line block ×3, first 2 shown]
	s_wait_loadcnt_dscnt 0x303
	v_mul_f64_e32 v[47:48], v[61:62], v[25:26]
	v_mul_f64_e32 v[25:26], v[59:60], v[25:26]
	v_fma_f64 v[55:56], v[55:56], v[19:20], -v[71:72]
	v_fma_f64 v[19:20], v[57:58], v[19:20], v[21:22]
	s_wait_loadcnt_dscnt 0x202
	v_mul_f64_e32 v[51:52], v[4:5], v[29:30]
	v_mul_f64_e32 v[29:30], v[2:3], v[29:30]
	s_wait_loadcnt_dscnt 0x101
	v_mul_f64_e32 v[63:64], v[8:9], v[33:34]
	s_wait_loadcnt_dscnt 0x0
	v_mul_f64_e32 v[65:66], v[13:14], v[37:38]
	v_mul_f64_e32 v[33:34], v[6:7], v[33:34]
	;; [unrolled: 1-line block ×3, first 2 shown]
	v_add_f64_e64 v[71:72], v[43:44], -v[39:40]
	v_add_f64_e64 v[75:76], v[41:42], -v[45:46]
	v_add_f64_e32 v[21:22], v[45:46], v[49:50]
	v_add_f64_e32 v[57:58], v[41:42], v[53:54]
	;; [unrolled: 1-line block ×4, first 2 shown]
	v_add_f64_e64 v[73:74], v[17:18], -v[15:16]
	v_fma_f64 v[47:48], v[59:60], v[23:24], -v[47:48]
	v_fma_f64 v[23:24], v[61:62], v[23:24], v[25:26]
	v_add_f64_e64 v[77:78], v[53:54], -v[49:50]
	v_add_f64_e64 v[79:80], v[45:46], -v[41:42]
	;; [unrolled: 1-line block ×3, first 2 shown]
	v_fma_f64 v[25:26], v[2:3], v[27:28], -v[51:52]
	v_fma_f64 v[27:28], v[4:5], v[27:28], v[29:30]
	v_fma_f64 v[6:7], v[6:7], v[31:32], -v[63:64]
	v_fma_f64 v[11:12], v[11:12], v[35:36], -v[65:66]
	v_fma_f64 v[8:9], v[8:9], v[31:32], v[33:34]
	v_fma_f64 v[13:14], v[13:14], v[35:36], v[37:38]
	v_add_f64_e64 v[29:30], v[41:42], -v[53:54]
	v_add_f64_e64 v[31:32], v[45:46], -v[49:50]
	;; [unrolled: 1-line block ×4, first 2 shown]
	ds_load_b128 v[2:5], v10
	global_wb scope:SCOPE_SE
	s_wait_dscnt 0x0
	s_barrier_signal -1
	s_barrier_wait -1
	global_inv scope:SCOPE_SE
	v_fma_f64 v[21:22], v[21:22], -0.5, v[19:20]
	v_fma_f64 v[37:38], v[57:58], -0.5, v[19:20]
	;; [unrolled: 1-line block ×4, first 2 shown]
	v_add_f64_e64 v[67:68], v[39:40], -v[43:44]
	v_add_f64_e64 v[69:70], v[15:16], -v[17:18]
	v_add_f64_e32 v[39:40], v[55:56], v[39:40]
	v_add_f64_e32 v[19:20], v[19:20], v[41:42]
	;; [unrolled: 1-line block ×11, first 2 shown]
	v_add_f64_e64 v[73:74], v[25:26], -v[6:7]
	v_fma_f64 v[83:84], v[33:34], s[0:1], v[21:22]
	v_fma_f64 v[85:86], v[35:36], s[12:13], v[37:38]
	;; [unrolled: 1-line block ×8, first 2 shown]
	v_add_f64_e32 v[67:68], v[67:68], v[69:70]
	v_add_f64_e64 v[69:70], v[47:48], -v[11:12]
	v_add_f64_e32 v[39:40], v[39:40], v[43:44]
	v_add_f64_e32 v[19:20], v[19:20], v[45:46]
	v_fma_f64 v[59:60], v[59:60], -0.5, v[2:3]
	v_fma_f64 v[2:3], v[61:62], -0.5, v[2:3]
	;; [unrolled: 1-line block ×4, first 2 shown]
	v_add_f64_e64 v[63:64], v[23:24], -v[13:14]
	v_add_f64_e64 v[65:66], v[27:28], -v[8:9]
	v_fma_f64 v[79:80], v[35:36], s[14:15], v[83:84]
	v_fma_f64 v[81:82], v[33:34], s[14:15], v[85:86]
	;; [unrolled: 1-line block ×8, first 2 shown]
	v_add_f64_e64 v[35:36], v[47:48], -v[25:26]
	v_add_f64_e64 v[47:48], v[25:26], -v[47:48]
	;; [unrolled: 1-line block ×4, first 2 shown]
	v_add_f64_e32 v[25:26], v[55:56], v[25:26]
	v_add_f64_e32 v[27:28], v[41:42], v[27:28]
	v_add_f64_e64 v[37:38], v[11:12], -v[6:7]
	v_add_f64_e64 v[51:52], v[6:7], -v[11:12]
	;; [unrolled: 1-line block ×4, first 2 shown]
	v_add_f64_e32 v[17:18], v[39:40], v[17:18]
	v_add_f64_e32 v[19:20], v[19:20], v[49:50]
	v_fma_f64 v[55:56], v[69:70], s[0:1], v[61:62]
	v_fma_f64 v[41:42], v[63:64], s[12:13], v[59:60]
	;; [unrolled: 1-line block ×16, first 2 shown]
	v_add_f64_e32 v[6:7], v[25:26], v[6:7]
	v_add_f64_e32 v[8:9], v[27:28], v[8:9]
	v_add_f64_e32 v[35:36], v[35:36], v[37:38]
	v_add_f64_e32 v[37:38], v[47:48], v[51:52]
	v_add_f64_e32 v[47:48], v[57:58], v[87:88]
	v_add_f64_e32 v[23:24], v[23:24], v[89:90]
	v_fma_f64 v[25:26], v[65:66], s[16:17], v[41:42]
	v_fma_f64 v[27:28], v[65:66], s[14:15], v[43:44]
	;; [unrolled: 1-line block ×8, first 2 shown]
	v_mul_f64_e32 v[49:50], s[16:17], v[79:80]
	v_mul_f64_e32 v[51:52], s[12:13], v[81:82]
	;; [unrolled: 1-line block ×8, first 2 shown]
	v_add_f64_e32 v[10:11], v[6:7], v[11:12]
	v_add_f64_e32 v[12:13], v[8:9], v[13:14]
	;; [unrolled: 1-line block ×4, first 2 shown]
	v_fma_f64 v[53:54], v[35:36], s[18:19], v[25:26]
	v_fma_f64 v[67:68], v[35:36], s[18:19], v[27:28]
	;; [unrolled: 1-line block ×10, first 2 shown]
	v_fma_f64 v[48:49], v[33:34], s[12:13], -v[55:56]
	v_fma_f64 v[50:51], v[21:22], s[16:17], -v[57:58]
	v_fma_f64 v[55:56], v[79:80], s[28:29], v[59:60]
	v_fma_f64 v[57:58], v[81:82], s[18:19], v[61:62]
	v_fma_f64 v[59:60], v[83:84], s[0:1], -v[63:64]
	v_fma_f64 v[61:62], v[85:86], s[14:15], -v[65:66]
	v_and_b32_e32 v52, 0xffff, v0
	s_mul_u64 s[0:1], s[10:11], s[26:27]
	s_wait_alu 0xfffe
	s_add_nc_u64 s[0:1], s[0:1], s[24:25]
	v_add_f64_e32 v[4:5], v[10:11], v[8:9]
	v_add_f64_e32 v[6:7], v[12:13], v[14:15]
	v_add_f64_e64 v[8:9], v[10:11], -v[8:9]
	v_add_f64_e64 v[10:11], v[12:13], -v[14:15]
	v_add_f64_e32 v[12:13], v[53:54], v[31:32]
	v_add_f64_e32 v[16:17], v[35:36], v[40:41]
	;; [unrolled: 1-line block ×8, first 2 shown]
	v_add_f64_e64 v[28:29], v[53:54], -v[31:32]
	v_add_f64_e64 v[30:31], v[38:39], -v[55:56]
	;; [unrolled: 1-line block ×8, first 2 shown]
	v_mul_u32_u24_e32 v2, 0x290, v52
	ds_store_b128 v1, v[4:7]
	ds_store_b128 v1, v[12:15] offset:160
	ds_store_b128 v1, v[16:19] offset:320
	;; [unrolled: 1-line block ×9, first 2 shown]
	v_lshrrev_b32_e32 v2, 16, v2
	global_wb scope:SCOPE_SE
	s_wait_dscnt 0x0
	s_barrier_signal -1
	s_barrier_wait -1
	global_inv scope:SCOPE_SE
	v_mul_lo_u16 v3, 0x64, v2
	s_delay_alu instid0(VALU_DEP_1) | instskip(NEXT) | instid1(VALU_DEP_1)
	v_sub_nc_u16 v0, v0, v3
	v_and_b32_e32 v3, 0xffff, v0
	s_cbranch_vccz .LBB0_33
; %bb.32:
	s_delay_alu instid0(VALU_DEP_1)
	v_mad_co_u64_u32 v[0:1], null, s4, v3, 0
	v_or_b32_e32 v11, 2, v2
	v_mul_u32_u24_e32 v8, 0x650, v2
	v_mul_lo_u32 v5, s7, v2
	v_mul_lo_u32 v4, s6, v2
	s_wait_alu 0xfffe
	s_lshl_b64 s[8:9], s[0:1], 4
	v_mad_co_u64_u32 v[16:17], null, s6, v11, 0
	v_mad_co_u64_u32 v[6:7], null, s5, v3, v[1:2]
	v_add_nc_u32_e32 v10, 1, v2
	v_add_nc_u32_e32 v24, 3, v2
	s_wait_alu 0xfffe
	s_add_nc_u64 s[8:9], s[2:3], s[8:9]
	v_lshlrev_b64_e32 v[4:5], 4, v[4:5]
	v_mov_b32_e32 v7, v17
	v_or_b32_e32 v27, 4, v2
	v_mov_b32_e32 v1, v6
	v_mad_co_u64_u32 v[12:13], null, s6, v10, 0
	v_lshlrev_b32_e32 v9, 4, v3
	v_mad_co_u64_u32 v[18:19], null, s6, v24, 0
	s_delay_alu instid0(VALU_DEP_4)
	v_lshlrev_b64_e32 v[0:1], 4, v[0:1]
	v_mad_co_u64_u32 v[22:23], null, s6, v27, 0
	v_mov_b32_e32 v6, v13
	v_add3_u32 v29, 0, v8, v9
	v_add_nc_u32_e32 v32, 5, v2
	s_wait_alu 0xfffe
	v_add_co_u32 v30, vcc_lo, s8, v0
	v_mad_co_u64_u32 v[8:9], null, s7, v10, v[6:7]
	s_wait_alu 0xfffd
	v_add_co_ci_u32_e32 v31, vcc_lo, s9, v1, vcc_lo
	s_delay_alu instid0(VALU_DEP_3) | instskip(SKIP_2) | instid1(VALU_DEP_2)
	v_add_co_u32 v0, vcc_lo, v30, v4
	s_mov_b32 s8, 0
	s_wait_alu 0xfffd
	v_add_co_ci_u32_e32 v1, vcc_lo, v31, v5, vcc_lo
	s_delay_alu instid0(VALU_DEP_4) | instskip(SKIP_4) | instid1(VALU_DEP_1)
	v_mov_b32_e32 v13, v8
	v_mad_co_u64_u32 v[14:15], null, s7, v11, v[7:8]
	ds_load_b128 v[4:7], v29
	ds_load_b128 v[8:11], v29 offset:1616
	v_lshlrev_b64_e32 v[20:21], 4, v[12:13]
	v_add_co_u32 v20, vcc_lo, v30, v20
	s_wait_alu 0xfffd
	s_delay_alu instid0(VALU_DEP_2) | instskip(NEXT) | instid1(VALU_DEP_2)
	v_add_co_ci_u32_e32 v21, vcc_lo, v31, v21, vcc_lo
	v_mad_co_u64_u32 v[24:25], null, s7, v24, v[19:20]
	v_mad_co_u64_u32 v[25:26], null, s6, v32, 0
	v_mov_b32_e32 v17, v14
	ds_load_b128 v[12:15], v29 offset:3232
	s_wait_dscnt 0x2
	global_store_b128 v[0:1], v[4:7], off
	s_wait_dscnt 0x1
	global_store_b128 v[20:21], v[8:11], off
	v_mov_b32_e32 v19, v23
	ds_load_b128 v[4:7], v29 offset:4848
	v_mov_b32_e32 v8, v26
	v_lshlrev_b64_e32 v[16:17], 4, v[16:17]
	s_delay_alu instid0(VALU_DEP_1) | instskip(SKIP_1) | instid1(VALU_DEP_2)
	v_add_co_u32 v16, vcc_lo, v30, v16
	s_wait_alu 0xfffd
	v_add_co_ci_u32_e32 v17, vcc_lo, v31, v17, vcc_lo
	s_wait_dscnt 0x1
	global_store_b128 v[16:17], v[12:15], off
	v_add_nc_u32_e32 v14, 0x1800, v29
	v_mad_co_u64_u32 v[27:28], null, s7, v27, v[19:20]
	v_mad_co_u64_u32 v[12:13], null, s7, v32, v[8:9]
	v_mov_b32_e32 v19, v24
	v_or_b32_e32 v24, 6, v2
	ds_load_2addr_b64 v[8:11], v14 offset0:40 offset1:41
	v_mov_b32_e32 v23, v27
	v_dual_mov_b32 v26, v12 :: v_dual_add_nc_u32 v27, 7, v2
	v_lshlrev_b64_e32 v[0:1], 4, v[18:19]
	v_mad_co_u64_u32 v[16:17], null, s6, v24, 0
	s_delay_alu instid0(VALU_DEP_4)
	v_lshlrev_b64_e32 v[18:19], 4, v[22:23]
	ds_load_2addr_b64 v[12:15], v14 offset0:242 offset1:243
	v_lshlrev_b64_e32 v[20:21], 4, v[25:26]
	v_add_co_u32 v0, vcc_lo, v30, v0
	s_wait_alu 0xfffd
	v_add_co_ci_u32_e32 v1, vcc_lo, v31, v1, vcc_lo
	v_add_co_u32 v18, vcc_lo, v30, v18
	s_wait_alu 0xfffd
	v_add_co_ci_u32_e32 v19, vcc_lo, v31, v19, vcc_lo
	v_or_b32_e32 v25, 8, v2
	s_delay_alu instid0(VALU_DEP_3)
	v_mad_co_u64_u32 v[22:23], null, s7, v24, v[17:18]
	v_mad_co_u64_u32 v[23:24], null, s6, v27, 0
	v_add_co_u32 v20, vcc_lo, v30, v20
	s_wait_alu 0xfffd
	v_add_co_ci_u32_e32 v21, vcc_lo, v31, v21, vcc_lo
	s_wait_dscnt 0x2
	global_store_b128 v[0:1], v[4:7], off
	s_wait_dscnt 0x1
	global_store_b128 v[18:19], v[8:11], off
	v_dual_mov_b32 v4, v24 :: v_dual_add_nc_u32 v5, 0x2000, v29
	v_add_nc_u32_e32 v19, 9, v2
	v_mad_co_u64_u32 v[0:1], null, s6, v25, 0
	s_wait_dscnt 0x0
	global_store_b128 v[20:21], v[12:15], off
	v_mad_co_u64_u32 v[8:9], null, s7, v27, v[4:5]
	v_mad_co_u64_u32 v[20:21], null, s6, v19, 0
	v_mov_b32_e32 v17, v22
	v_mad_co_u64_u32 v[12:13], null, s7, v25, v[1:2]
	s_delay_alu instid0(VALU_DEP_4) | instskip(NEXT) | instid1(VALU_DEP_4)
	v_dual_mov_b32 v24, v8 :: v_dual_add_nc_u32 v9, 0x2800, v29
	v_dual_mov_b32 v18, v21 :: v_dual_add_nc_u32 v13, 0x3000, v29
	s_delay_alu instid0(VALU_DEP_4)
	v_lshlrev_b64_e32 v[16:17], 4, v[16:17]
	ds_load_2addr_b64 v[4:7], v5 offset0:188 offset1:189
	v_lshlrev_b64_e32 v[22:23], 4, v[23:24]
	v_mov_b32_e32 v1, v12
	v_mad_co_u64_u32 v[24:25], null, s7, v19, v[18:19]
	v_add_nc_u32_e32 v18, 0x3800, v29
	v_add_co_u32 v25, vcc_lo, v30, v16
	s_wait_alu 0xfffd
	v_add_co_ci_u32_e32 v26, vcc_lo, v31, v17, vcc_lo
	ds_load_2addr_b64 v[16:19], v18 offset0:26 offset1:27
	ds_load_2addr_b64 v[8:11], v9 offset0:134 offset1:135
	;; [unrolled: 1-line block ×3, first 2 shown]
	v_mov_b32_e32 v21, v24
	v_lshlrev_b64_e32 v[0:1], 4, v[0:1]
	v_add_co_u32 v22, vcc_lo, v30, v22
	s_wait_alu 0xfffd
	v_add_co_ci_u32_e32 v23, vcc_lo, v31, v23, vcc_lo
	v_lshlrev_b64_e32 v[20:21], 4, v[20:21]
	s_delay_alu instid0(VALU_DEP_4)
	v_add_co_u32 v0, vcc_lo, v30, v0
	s_wait_alu 0xfffd
	v_add_co_ci_u32_e32 v1, vcc_lo, v31, v1, vcc_lo
	s_wait_dscnt 0x3
	global_store_b128 v[25:26], v[4:7], off
	s_wait_dscnt 0x1
	global_store_b128 v[22:23], v[8:11], off
	;; [unrolled: 2-line block ×3, first 2 shown]
	v_add_co_u32 v20, vcc_lo, v30, v20
	s_wait_alu 0xfffd
	v_add_co_ci_u32_e32 v21, vcc_lo, v31, v21, vcc_lo
	global_store_b128 v[20:21], v[16:19], off
.LBB0_33:
	s_wait_alu 0xfffe
	s_and_not1_b32 vcc_lo, exec_lo, s8
	s_wait_alu 0xfffe
	s_cbranch_vccnz .LBB0_37
; %bb.34:
	v_add_co_u32 v0, s8, s22, v2
	s_wait_alu 0xf1ff
	v_add_co_ci_u32_e64 v1, null, s23, 0, s8
	s_mov_b32 s8, exec_lo
	s_delay_alu instid0(VALU_DEP_1)
	v_cmpx_gt_u64_e64 s[20:21], v[0:1]
	s_cbranch_execz .LBB0_37
; %bb.35:
	v_mad_co_u64_u32 v[4:5], null, s4, v3, 0
	s_lshl_b64 s[0:1], s[0:1], 4
	v_lshlrev_b32_e32 v7, 4, v3
	s_wait_alu 0xfffe
	s_add_nc_u64 s[0:1], s[2:3], s[0:1]
	s_mov_b32 s2, 0
	s_delay_alu instid0(VALU_DEP_2) | instskip(SKIP_1) | instid1(VALU_DEP_2)
	v_mad_co_u64_u32 v[5:6], null, s5, v3, v[5:6]
	v_mul_u32_u24_e32 v6, 0x650, v2
	v_lshlrev_b64_e32 v[4:5], 4, v[4:5]
	s_wait_alu 0xfffe
	s_delay_alu instid0(VALU_DEP_1) | instskip(SKIP_1) | instid1(VALU_DEP_2)
	v_add_co_u32 v3, vcc_lo, s0, v4
	s_wait_alu 0xfffd
	v_add_co_ci_u32_e32 v4, vcc_lo, s1, v5, vcc_lo
	v_add3_u32 v5, v6, v7, 0
	s_mov_b32 s1, 0
.LBB0_36:                               ; =>This Inner Loop Header: Depth=1
	v_add_nc_u32_e32 v7, s2, v2
	s_add_co_i32 s2, s2, 1
	s_delay_alu instid0(VALU_DEP_1) | instskip(NEXT) | instid1(VALU_DEP_1)
	v_mad_co_u64_u32 v[10:11], null, s6, v7, 0
	v_mov_b32_e32 v6, v11
	s_delay_alu instid0(VALU_DEP_1)
	v_mad_co_u64_u32 v[11:12], null, s7, v7, v[6:7]
	ds_load_b128 v[6:9], v5
	s_wait_alu 0xfffe
	v_add_co_u32 v12, vcc_lo, v0, s2
	s_wait_alu 0xfffd
	v_add_co_ci_u32_e32 v13, vcc_lo, 0, v1, vcc_lo
	v_add_nc_u32_e32 v5, 0x650, v5
	v_lshlrev_b64_e32 v[10:11], 4, v[10:11]
	s_delay_alu instid0(VALU_DEP_3) | instskip(NEXT) | instid1(VALU_DEP_2)
	v_cmp_le_u64_e32 vcc_lo, s[20:21], v[12:13]
	v_add_co_u32 v10, s0, v3, v10
	s_wait_alu 0xf1ff
	s_delay_alu instid0(VALU_DEP_3)
	v_add_co_ci_u32_e64 v11, s0, v4, v11, s0
	s_or_b32 s1, vcc_lo, s1
	s_wait_dscnt 0x0
	global_store_b128 v[10:11], v[6:9], off
	s_wait_alu 0xfffe
	s_and_not1_b32 exec_lo, exec_lo, s1
	s_cbranch_execnz .LBB0_36
.LBB0_37:
	s_nop 0
	s_sendmsg sendmsg(MSG_DEALLOC_VGPRS)
	s_endpgm
.LBB0_38:
                                        ; implicit-def: $vgpr4_vgpr5
	s_branch .LBB0_20
	.section	.rodata,"a",@progbits
	.p2align	6, 0x0
	.amdhsa_kernel fft_rtc_fwd_len100_factors_10_10_wgs_100_tpt_10_dp_op_CI_CI_sbcr_C2R_dirReg_intrinsicReadWrite
		.amdhsa_group_segment_fixed_size 0
		.amdhsa_private_segment_fixed_size 0
		.amdhsa_kernarg_size 104
		.amdhsa_user_sgpr_count 2
		.amdhsa_user_sgpr_dispatch_ptr 0
		.amdhsa_user_sgpr_queue_ptr 0
		.amdhsa_user_sgpr_kernarg_segment_ptr 1
		.amdhsa_user_sgpr_dispatch_id 0
		.amdhsa_user_sgpr_private_segment_size 0
		.amdhsa_wavefront_size32 1
		.amdhsa_uses_dynamic_stack 0
		.amdhsa_enable_private_segment 0
		.amdhsa_system_sgpr_workgroup_id_x 1
		.amdhsa_system_sgpr_workgroup_id_y 0
		.amdhsa_system_sgpr_workgroup_id_z 0
		.amdhsa_system_sgpr_workgroup_info 0
		.amdhsa_system_vgpr_workitem_id 0
		.amdhsa_next_free_vgpr 91
		.amdhsa_next_free_sgpr 59
		.amdhsa_reserve_vcc 1
		.amdhsa_float_round_mode_32 0
		.amdhsa_float_round_mode_16_64 0
		.amdhsa_float_denorm_mode_32 3
		.amdhsa_float_denorm_mode_16_64 3
		.amdhsa_fp16_overflow 0
		.amdhsa_workgroup_processor_mode 1
		.amdhsa_memory_ordered 1
		.amdhsa_forward_progress 0
		.amdhsa_round_robin_scheduling 0
		.amdhsa_exception_fp_ieee_invalid_op 0
		.amdhsa_exception_fp_denorm_src 0
		.amdhsa_exception_fp_ieee_div_zero 0
		.amdhsa_exception_fp_ieee_overflow 0
		.amdhsa_exception_fp_ieee_underflow 0
		.amdhsa_exception_fp_ieee_inexact 0
		.amdhsa_exception_int_div_zero 0
	.end_amdhsa_kernel
	.text
.Lfunc_end0:
	.size	fft_rtc_fwd_len100_factors_10_10_wgs_100_tpt_10_dp_op_CI_CI_sbcr_C2R_dirReg_intrinsicReadWrite, .Lfunc_end0-fft_rtc_fwd_len100_factors_10_10_wgs_100_tpt_10_dp_op_CI_CI_sbcr_C2R_dirReg_intrinsicReadWrite
                                        ; -- End function
	.section	.AMDGPU.csdata,"",@progbits
; Kernel info:
; codeLenInByte = 10008
; NumSgprs: 61
; NumVgprs: 91
; ScratchSize: 0
; MemoryBound: 0
; FloatMode: 240
; IeeeMode: 1
; LDSByteSize: 0 bytes/workgroup (compile time only)
; SGPRBlocks: 7
; VGPRBlocks: 11
; NumSGPRsForWavesPerEU: 61
; NumVGPRsForWavesPerEU: 91
; Occupancy: 16
; WaveLimiterHint : 1
; COMPUTE_PGM_RSRC2:SCRATCH_EN: 0
; COMPUTE_PGM_RSRC2:USER_SGPR: 2
; COMPUTE_PGM_RSRC2:TRAP_HANDLER: 0
; COMPUTE_PGM_RSRC2:TGID_X_EN: 1
; COMPUTE_PGM_RSRC2:TGID_Y_EN: 0
; COMPUTE_PGM_RSRC2:TGID_Z_EN: 0
; COMPUTE_PGM_RSRC2:TIDIG_COMP_CNT: 0
	.text
	.p2alignl 7, 3214868480
	.fill 96, 4, 3214868480
	.type	__hip_cuid_f1f9f03134ef12a6,@object ; @__hip_cuid_f1f9f03134ef12a6
	.section	.bss,"aw",@nobits
	.globl	__hip_cuid_f1f9f03134ef12a6
__hip_cuid_f1f9f03134ef12a6:
	.byte	0                               ; 0x0
	.size	__hip_cuid_f1f9f03134ef12a6, 1

	.ident	"AMD clang version 19.0.0git (https://github.com/RadeonOpenCompute/llvm-project roc-6.4.0 25133 c7fe45cf4b819c5991fe208aaa96edf142730f1d)"
	.section	".note.GNU-stack","",@progbits
	.addrsig
	.addrsig_sym __hip_cuid_f1f9f03134ef12a6
	.amdgpu_metadata
---
amdhsa.kernels:
  - .args:
      - .actual_access:  read_only
        .address_space:  global
        .offset:         0
        .size:           8
        .value_kind:     global_buffer
      - .offset:         8
        .size:           8
        .value_kind:     by_value
      - .actual_access:  read_only
        .address_space:  global
        .offset:         16
        .size:           8
        .value_kind:     global_buffer
      - .actual_access:  read_only
        .address_space:  global
        .offset:         24
        .size:           8
        .value_kind:     global_buffer
      - .actual_access:  read_only
        .address_space:  global
        .offset:         32
        .size:           8
        .value_kind:     global_buffer
      - .offset:         40
        .size:           8
        .value_kind:     by_value
      - .actual_access:  read_only
        .address_space:  global
        .offset:         48
        .size:           8
        .value_kind:     global_buffer
      - .actual_access:  read_only
        .address_space:  global
        .offset:         56
        .size:           8
        .value_kind:     global_buffer
      - .offset:         64
        .size:           4
        .value_kind:     by_value
      - .actual_access:  read_only
        .address_space:  global
        .offset:         72
        .size:           8
        .value_kind:     global_buffer
      - .actual_access:  read_only
        .address_space:  global
        .offset:         80
        .size:           8
        .value_kind:     global_buffer
      - .actual_access:  read_only
        .address_space:  global
        .offset:         88
        .size:           8
        .value_kind:     global_buffer
      - .actual_access:  write_only
        .address_space:  global
        .offset:         96
        .size:           8
        .value_kind:     global_buffer
    .group_segment_fixed_size: 0
    .kernarg_segment_align: 8
    .kernarg_segment_size: 104
    .language:       OpenCL C
    .language_version:
      - 2
      - 0
    .max_flat_workgroup_size: 100
    .name:           fft_rtc_fwd_len100_factors_10_10_wgs_100_tpt_10_dp_op_CI_CI_sbcr_C2R_dirReg_intrinsicReadWrite
    .private_segment_fixed_size: 0
    .sgpr_count:     61
    .sgpr_spill_count: 0
    .symbol:         fft_rtc_fwd_len100_factors_10_10_wgs_100_tpt_10_dp_op_CI_CI_sbcr_C2R_dirReg_intrinsicReadWrite.kd
    .uniform_work_group_size: 1
    .uses_dynamic_stack: false
    .vgpr_count:     91
    .vgpr_spill_count: 0
    .wavefront_size: 32
    .workgroup_processor_mode: 1
amdhsa.target:   amdgcn-amd-amdhsa--gfx1201
amdhsa.version:
  - 1
  - 2
...

	.end_amdgpu_metadata
